;; amdgpu-corpus repo=ROCm/rocFFT kind=compiled arch=gfx950 opt=O3
	.text
	.amdgcn_target "amdgcn-amd-amdhsa--gfx950"
	.amdhsa_code_object_version 6
	.protected	bluestein_single_fwd_len1750_dim1_dp_op_CI_CI ; -- Begin function bluestein_single_fwd_len1750_dim1_dp_op_CI_CI
	.globl	bluestein_single_fwd_len1750_dim1_dp_op_CI_CI
	.p2align	8
	.type	bluestein_single_fwd_len1750_dim1_dp_op_CI_CI,@function
bluestein_single_fwd_len1750_dim1_dp_op_CI_CI: ; @bluestein_single_fwd_len1750_dim1_dp_op_CI_CI
; %bb.0:
	s_load_dwordx4 s[12:15], s[0:1], 0x28
	v_mul_u32_u24_e32 v1, 0x177, v0
	v_mov_b32_e32 v223, 0
	v_add_u32_sdwa v224, s2, v1 dst_sel:DWORD dst_unused:UNUSED_PAD src0_sel:DWORD src1_sel:WORD_1
	v_mov_b32_e32 v225, v223
	s_waitcnt lgkmcnt(0)
	v_cmp_gt_u64_e32 vcc, s[12:13], v[224:225]
	s_and_saveexec_b64 s[2:3], vcc
	s_cbranch_execz .LBB0_10
; %bb.1:
	s_load_dwordx4 s[4:7], s[0:1], 0x18
	s_load_dwordx4 s[8:11], s[0:1], 0x0
	v_mov_b32_e32 v2, s14
	v_mov_b32_e32 v3, s15
	s_movk_i32 s2, 0xaf
	s_waitcnt lgkmcnt(0)
	s_load_dwordx4 s[12:15], s[4:5], 0x0
	v_mul_lo_u16_sdwa v1, v1, s2 dst_sel:DWORD dst_unused:UNUSED_PAD src0_sel:WORD_1 src1_sel:DWORD
	v_sub_u16_e32 v222, v0, v1
	v_lshlrev_b32_e32 v220, 4, v222
	v_mov_b32_e32 v221, v223
	s_waitcnt lgkmcnt(0)
	v_mad_u64_u32 v[0:1], s[2:3], s14, v224, 0
	v_mov_b32_e32 v4, v1
	v_mad_u64_u32 v[4:5], s[2:3], s15, v224, v[4:5]
	v_mov_b32_e32 v1, v4
	v_mad_u64_u32 v[4:5], s[2:3], s12, v222, 0
	v_mov_b32_e32 v6, v5
	v_mad_u64_u32 v[6:7], s[2:3], s13, v222, v[6:7]
	v_mov_b32_e32 v5, v6
	v_lshl_add_u64 v[0:1], v[0:1], 4, v[2:3]
	v_lshl_add_u64 v[0:1], v[4:5], 4, v[0:1]
	v_mov_b32_e32 v6, 0x36b0
	global_load_dwordx4 v[40:43], v[0:1], off
	v_mad_u64_u32 v[0:1], s[2:3], s12, v6, v[0:1]
	v_lshl_add_u64 v[32:33], s[8:9], 0, v[220:221]
	s_mul_i32 s2, s13, 0x36b0
	s_movk_i32 s3, 0x3000
	v_add_u32_e32 v1, s2, v1
	v_add_co_u32_e32 v2, vcc, s3, v32
	v_mov_b32_e32 v7, 0xffffd440
	s_mul_i32 s3, s13, 0xffffd440
	v_mad_u64_u32 v[4:5], s[4:5], s12, v7, v[0:1]
	s_sub_i32 s3, s3, s12
	v_add_u32_e32 v5, s3, v5
	global_load_dwordx4 v[48:51], v[0:1], off
	global_load_dwordx4 v[44:47], v[4:5], off
	global_load_dwordx4 v[36:39], v220, s[8:9]
	global_load_dwordx4 v[8:11], v220, s[8:9] offset:2800
	v_mad_u64_u32 v[0:1], s[4:5], s12, v6, v[4:5]
	v_addc_co_u32_e32 v3, vcc, 0, v33, vcc
	s_movk_i32 s4, 0x4000
	v_add_co_u32_e32 v4, vcc, s4, v32
	v_add_u32_e32 v1, s2, v1
	s_nop 0
	v_addc_co_u32_e32 v5, vcc, 0, v33, vcc
	global_load_dwordx4 v[16:19], v[2:3], off offset:1712
	global_load_dwordx4 v[12:15], v[4:5], off offset:416
	v_mad_u64_u32 v[2:3], s[4:5], s12, v7, v[0:1]
	v_add_u32_e32 v3, s3, v3
	s_movk_i32 s4, 0x1000
	global_load_dwordx4 v[52:55], v[0:1], off
	global_load_dwordx4 v[56:59], v[2:3], off
	v_add_co_u32_e32 v0, vcc, s4, v32
	v_mad_u64_u32 v[2:3], s[4:5], s12, v6, v[2:3]
	s_nop 0
	v_addc_co_u32_e32 v1, vcc, 0, v33, vcc
	v_add_u32_e32 v3, s2, v3
	global_load_dwordx4 v[60:63], v[2:3], off
	global_load_dwordx4 v[88:91], v[0:1], off offset:1504
	global_load_dwordx4 v[84:87], v[4:5], off offset:3216
	v_mad_u64_u32 v[0:1], s[4:5], s12, v7, v[2:3]
	v_add_u32_e32 v1, s3, v1
	s_movk_i32 s4, 0x2000
	global_load_dwordx4 v[64:67], v[0:1], off
	v_add_co_u32_e32 v2, vcc, s4, v32
	v_mad_u64_u32 v[0:1], s[4:5], s12, v6, v[0:1]
	s_nop 0
	v_addc_co_u32_e32 v3, vcc, 0, v33, vcc
	v_add_u32_e32 v1, s2, v1
	s_movk_i32 s4, 0x5000
	global_load_dwordx4 v[68:71], v[0:1], off
	v_add_co_u32_e32 v4, vcc, s4, v32
	v_mad_u64_u32 v[0:1], s[4:5], s12, v7, v[0:1]
	s_nop 0
	v_addc_co_u32_e32 v5, vcc, 0, v33, vcc
	global_load_dwordx4 v[28:31], v[2:3], off offset:208
	global_load_dwordx4 v[20:23], v[4:5], off offset:1920
	v_add_u32_e32 v1, s3, v1
	global_load_dwordx4 v[72:75], v[0:1], off
	global_load_dwordx4 v[24:27], v[2:3], off offset:3008
	v_mad_u64_u32 v[0:1], s[4:5], s12, v6, v[0:1]
	v_add_u32_e32 v1, s2, v1
	s_movk_i32 s2, 0x6000
	global_load_dwordx4 v[76:79], v[0:1], off
	v_add_co_u32_e32 v0, vcc, s2, v32
	s_load_dwordx4 s[4:7], s[6:7], 0x0
	s_nop 0
	v_addc_co_u32_e32 v1, vcc, 0, v33, vcc
	global_load_dwordx4 v[32:35], v[0:1], off offset:624
	s_mov_b64 s[2:3], 0xaf
	v_lshl_add_u64 v[176:177], v[222:223], 0, s[2:3]
	v_and_b32_e32 v4, 1, v222
	v_lshlrev_b32_e32 v225, 5, v176
	v_lshlrev_b32_e32 v177, 5, v222
	s_mov_b32 s12, 0x134454ff
	s_mov_b32 s13, 0x3fee6f0e
	s_mov_b32 s2, 0x4755a5e
	s_mov_b32 s17, 0xbfee6f0e
	s_mov_b32 s16, s12
	s_mov_b32 s3, 0x3fe2cf23
	s_mov_b32 s14, 0x372fe950
	s_mov_b32 s19, 0xbfe2cf23
	s_mov_b32 s18, s2
	s_mov_b32 s15, 0x3fd3c6ef
	s_movk_i32 s20, 0xcd
                                        ; implicit-def: $vgpr168_vgpr169
                                        ; implicit-def: $vgpr172_vgpr173
                                        ; implicit-def: $vgpr164_vgpr165
                                        ; implicit-def: $vgpr160_vgpr161
	s_waitcnt vmcnt(16)
	v_mul_f64 v[80:81], v[42:43], v[38:39]
	v_mul_f64 v[0:1], v[40:41], v[38:39]
	v_fmac_f64_e32 v[80:81], v[40:41], v[36:37]
	v_fma_f64 v[82:83], v[42:43], v[36:37], -v[0:1]
	ds_write_b128 v220, v[80:83]
	s_waitcnt vmcnt(15)
	v_accvgpr_write_b32 a0, v8
	v_accvgpr_write_b32 a1, v9
	;; [unrolled: 1-line block ×4, first 2 shown]
	s_waitcnt vmcnt(14)
	v_mul_f64 v[40:41], v[50:51], v[18:19]
	v_mul_f64 v[0:1], v[48:49], v[18:19]
	v_fmac_f64_e32 v[40:41], v[48:49], v[16:17]
	v_fma_f64 v[42:43], v[50:51], v[16:17], -v[0:1]
	ds_write_b128 v220, v[40:43] offset:14000
	v_mul_f64 v[40:41], v[46:47], v[10:11]
	v_mul_f64 v[0:1], v[44:45], v[10:11]
	v_fmac_f64_e32 v[40:41], v[44:45], v[8:9]
	v_fma_f64 v[42:43], v[46:47], v[8:9], -v[0:1]
	ds_write_b128 v220, v[40:43] offset:2800
	s_waitcnt vmcnt(12)
	v_mul_f64 v[40:41], v[54:55], v[14:15]
	v_mul_f64 v[0:1], v[52:53], v[14:15]
	v_fmac_f64_e32 v[40:41], v[52:53], v[12:13]
	v_fma_f64 v[42:43], v[54:55], v[12:13], -v[0:1]
	ds_write_b128 v220, v[40:43] offset:16800
	s_waitcnt vmcnt(9)
	;; [unrolled: 6-line block ×3, first 2 shown]
	v_mul_f64 v[40:41], v[62:63], v[86:87]
	v_mul_f64 v[0:1], v[60:61], v[86:87]
	v_fmac_f64_e32 v[40:41], v[60:61], v[84:85]
	v_fma_f64 v[42:43], v[62:63], v[84:85], -v[0:1]
	ds_write_b128 v220, v[40:43] offset:19600
	v_and_b32_e32 v10, 1, v176
	v_accvgpr_write_b32 a16, v88
	v_accvgpr_write_b32 a12, v84
	;; [unrolled: 1-line block ×8, first 2 shown]
	s_waitcnt vmcnt(5)
	v_mul_f64 v[40:41], v[66:67], v[30:31]
	v_mul_f64 v[0:1], v[64:65], v[30:31]
	v_fmac_f64_e32 v[40:41], v[64:65], v[28:29]
	v_fma_f64 v[42:43], v[66:67], v[28:29], -v[0:1]
	ds_write_b128 v220, v[40:43] offset:8400
	s_waitcnt vmcnt(4)
	v_mul_f64 v[40:41], v[70:71], v[22:23]
	v_mul_f64 v[0:1], v[68:69], v[22:23]
	v_fmac_f64_e32 v[40:41], v[68:69], v[20:21]
	v_fma_f64 v[42:43], v[70:71], v[20:21], -v[0:1]
	ds_write_b128 v220, v[40:43] offset:22400
	;; [unrolled: 6-line block ×4, first 2 shown]
	s_waitcnt lgkmcnt(0)
	s_barrier
	ds_read_b128 v[40:43], v220 offset:14000
	ds_read_b128 v[44:47], v220
	ds_read_b128 v[48:51], v220 offset:2800
	ds_read_b128 v[52:55], v220 offset:16800
	;; [unrolled: 1-line block ×8, first 2 shown]
	s_waitcnt lgkmcnt(8)
	v_add_f64 v[40:41], v[44:45], -v[40:41]
	v_add_f64 v[42:43], v[46:47], -v[42:43]
	s_waitcnt lgkmcnt(6)
	v_add_f64 v[52:53], v[48:49], -v[52:53]
	v_add_f64 v[54:55], v[50:51], -v[54:55]
	v_lshlrev_b16_e32 v0, 1, v222
	v_fma_f64 v[44:45], v[44:45], 2.0, -v[40:41]
	v_fma_f64 v[46:47], v[46:47], 2.0, -v[42:43]
	;; [unrolled: 1-line block ×4, first 2 shown]
	s_waitcnt lgkmcnt(4)
	v_add_f64 v[56:57], v[60:61], -v[56:57]
	v_add_f64 v[58:59], v[62:63], -v[58:59]
	s_waitcnt lgkmcnt(1)
	v_add_f64 v[72:73], v[64:65], -v[72:73]
	v_add_f64 v[74:75], v[66:67], -v[74:75]
	;; [unrolled: 3-line block ×3, first 2 shown]
	v_lshlrev_b32_e32 v221, 4, v0
	v_lshlrev_b32_e32 v0, 6, v4
	v_fma_f64 v[60:61], v[60:61], 2.0, -v[56:57]
	v_fma_f64 v[62:63], v[62:63], 2.0, -v[58:59]
	;; [unrolled: 1-line block ×6, first 2 shown]
	s_barrier
	ds_write_b128 v221, v[44:47]
	ds_write_b128 v221, v[40:43] offset:16
	ds_write_b128 v225, v[48:51]
	ds_write_b128 v225, v[52:55] offset:16
	ds_write_b128 v177, v[60:63] offset:11200
	;; [unrolled: 1-line block ×7, first 2 shown]
	s_waitcnt lgkmcnt(0)
	s_barrier
	global_load_dwordx4 v[52:55], v0, s[10:11]
	global_load_dwordx4 v[48:51], v0, s[10:11] offset:16
	global_load_dwordx4 v[44:47], v0, s[10:11] offset:32
	;; [unrolled: 1-line block ×3, first 2 shown]
	v_lshlrev_b32_e32 v0, 6, v10
	global_load_dwordx4 v[68:71], v0, s[10:11]
	global_load_dwordx4 v[64:67], v0, s[10:11] offset:16
	global_load_dwordx4 v[60:63], v0, s[10:11] offset:32
	;; [unrolled: 1-line block ×3, first 2 shown]
	ds_read_b128 v[72:75], v220 offset:5600
	ds_read_b128 v[76:79], v220 offset:8400
	ds_read_b128 v[80:83], v220 offset:11200
	ds_read_b128 v[112:115], v220 offset:14000
	ds_read_b128 v[84:87], v220 offset:16800
	ds_read_b128 v[116:119], v220 offset:19600
	ds_read_b128 v[88:91], v220 offset:22400
	ds_read_b128 v[120:123], v220 offset:25200
	v_accvgpr_write_b32 a8, v16
	v_accvgpr_write_b32 a9, v17
	;; [unrolled: 1-line block ×8, first 2 shown]
	s_waitcnt vmcnt(7) lgkmcnt(7)
	v_mul_f64 v[0:1], v[74:75], v[54:55]
	v_fma_f64 v[102:103], v[72:73], v[52:53], -v[0:1]
	s_waitcnt vmcnt(6) lgkmcnt(5)
	v_mul_f64 v[0:1], v[82:83], v[50:51]
	v_fma_f64 v[106:107], v[80:81], v[48:49], -v[0:1]
	;; [unrolled: 3-line block ×3, first 2 shown]
	s_waitcnt vmcnt(4) lgkmcnt(1)
	v_mul_f64 v[0:1], v[90:91], v[42:43]
	v_mul_f64 v[96:97], v[80:81], v[50:51]
	v_mul_f64 v[98:99], v[84:85], v[46:47]
	v_fma_f64 v[110:111], v[88:89], v[40:41], -v[0:1]
	s_waitcnt vmcnt(3)
	v_mul_f64 v[0:1], v[78:79], v[70:71]
	v_mul_f64 v[80:81], v[76:77], v[70:71]
	v_fmac_f64_e32 v[98:99], v[86:87], v[44:45]
	v_fma_f64 v[86:87], v[76:77], v[68:69], -v[0:1]
	v_fmac_f64_e32 v[80:81], v[78:79], v[68:69]
	ds_read_b128 v[76:79], v220
	s_waitcnt vmcnt(2)
	v_mul_f64 v[0:1], v[114:115], v[66:67]
	v_mul_f64 v[100:101], v[88:89], v[42:43]
	v_fma_f64 v[88:89], v[112:113], v[64:65], -v[0:1]
	s_waitcnt vmcnt(1)
	v_mul_f64 v[0:1], v[118:119], v[62:63]
	v_mul_f64 v[92:93], v[72:73], v[54:55]
	v_fma_f64 v[94:95], v[116:117], v[60:61], -v[0:1]
	s_waitcnt vmcnt(0) lgkmcnt(1)
	v_mul_f64 v[0:1], v[122:123], v[58:59]
	v_fmac_f64_e32 v[92:93], v[74:75], v[52:53]
	ds_read_b128 v[72:75], v220 offset:2800
	v_fma_f64 v[104:105], v[120:121], v[56:57], -v[0:1]
	s_waitcnt lgkmcnt(1)
	v_add_f64 v[0:1], v[76:77], v[102:103]
	v_add_f64 v[0:1], v[0:1], v[106:107]
	;; [unrolled: 1-line block ×3, first 2 shown]
	v_fmac_f64_e32 v[96:97], v[82:83], v[48:49]
	v_mul_f64 v[82:83], v[112:113], v[66:67]
	v_add_f64 v[2:3], v[78:79], v[92:93]
	v_add_f64 v[112:113], v[0:1], v[110:111]
	v_lshrrev_b32_e32 v0, 1, v222
	v_add_f64 v[2:3], v[2:3], v[96:97]
	v_mul_u32_u24_e32 v0, 10, v0
	v_fmac_f64_e32 v[100:101], v[90:91], v[40:41]
	v_add_f64 v[2:3], v[2:3], v[98:99]
	v_or_b32_e32 v0, v0, v4
	v_fmac_f64_e32 v[82:83], v[114:115], v[64:65]
	v_add_f64 v[114:115], v[2:3], v[100:101]
	v_lshlrev_b32_e32 v244, 4, v0
	v_add_f64 v[0:1], v[102:103], -v[106:107]
	v_add_f64 v[2:3], v[110:111], -v[108:109]
	v_add_f64 v[0:1], v[0:1], v[2:3]
	v_add_f64 v[2:3], v[106:107], v[108:109]
	s_waitcnt lgkmcnt(0)
	s_barrier
	ds_write_b128 v244, v[112:115]
	v_fma_f64 v[112:113], -0.5, v[2:3], v[76:77]
	v_add_f64 v[2:3], v[92:93], -v[100:101]
	v_mul_f64 v[84:85], v[116:117], v[62:63]
	v_add_f64 v[4:5], v[96:97], -v[98:99]
	v_fma_f64 v[116:117], s[12:13], v[2:3], v[112:113]
	v_fmac_f64_e32 v[112:113], s[16:17], v[2:3]
	v_fmac_f64_e32 v[116:117], s[2:3], v[4:5]
	v_fmac_f64_e32 v[112:113], s[18:19], v[4:5]
	v_fmac_f64_e32 v[116:117], s[14:15], v[0:1]
	v_fmac_f64_e32 v[112:113], s[14:15], v[0:1]
	v_add_f64 v[0:1], v[102:103], v[110:111]
	v_fmac_f64_e32 v[76:77], -0.5, v[0:1]
	v_mul_f64 v[90:91], v[120:121], v[58:59]
	v_add_f64 v[0:1], v[106:107], -v[102:103]
	v_add_f64 v[6:7], v[108:109], -v[110:111]
	v_fma_f64 v[120:121], s[16:17], v[4:5], v[76:77]
	v_fmac_f64_e32 v[76:77], s[12:13], v[4:5]
	v_add_f64 v[0:1], v[0:1], v[6:7]
	v_fmac_f64_e32 v[120:121], s[2:3], v[2:3]
	v_fmac_f64_e32 v[76:77], s[18:19], v[2:3]
	;; [unrolled: 1-line block ×4, first 2 shown]
	v_add_f64 v[0:1], v[96:97], v[98:99]
	v_fma_f64 v[114:115], -0.5, v[0:1], v[78:79]
	v_add_f64 v[0:1], v[102:103], -v[110:111]
	v_fmac_f64_e32 v[84:85], v[118:119], v[60:61]
	v_add_f64 v[2:3], v[106:107], -v[108:109]
	v_add_f64 v[4:5], v[92:93], -v[96:97]
	v_add_f64 v[6:7], v[100:101], -v[98:99]
	v_fma_f64 v[118:119], s[16:17], v[0:1], v[114:115]
	v_fmac_f64_e32 v[114:115], s[12:13], v[0:1]
	v_add_f64 v[4:5], v[4:5], v[6:7]
	v_fmac_f64_e32 v[118:119], s[18:19], v[2:3]
	v_fmac_f64_e32 v[114:115], s[2:3], v[2:3]
	;; [unrolled: 1-line block ×4, first 2 shown]
	v_add_f64 v[4:5], v[92:93], v[100:101]
	v_fmac_f64_e32 v[78:79], -0.5, v[4:5]
	v_fmac_f64_e32 v[90:91], v[122:123], v[56:57]
	v_fma_f64 v[122:123], s[12:13], v[2:3], v[78:79]
	v_fmac_f64_e32 v[78:79], s[16:17], v[2:3]
	v_fmac_f64_e32 v[122:123], s[18:19], v[0:1]
	;; [unrolled: 1-line block ×3, first 2 shown]
	v_add_f64 v[0:1], v[86:87], -v[88:89]
	v_add_f64 v[2:3], v[104:105], -v[94:95]
	;; [unrolled: 1-line block ×4, first 2 shown]
	v_add_f64 v[0:1], v[0:1], v[2:3]
	v_add_f64 v[2:3], v[88:89], v[94:95]
	;; [unrolled: 1-line block ×3, first 2 shown]
	v_fma_f64 v[96:97], -0.5, v[2:3], v[72:73]
	v_add_f64 v[2:3], v[80:81], -v[90:91]
	v_fmac_f64_e32 v[122:123], s[14:15], v[4:5]
	v_fmac_f64_e32 v[78:79], s[14:15], v[4:5]
	v_add_f64 v[4:5], v[82:83], -v[84:85]
	v_fma_f64 v[92:93], s[12:13], v[2:3], v[96:97]
	v_fmac_f64_e32 v[96:97], s[16:17], v[2:3]
	v_fmac_f64_e32 v[92:93], s[2:3], v[4:5]
	;; [unrolled: 1-line block ×3, first 2 shown]
	v_add_f64 v[6:7], v[86:87], v[104:105]
	v_fmac_f64_e32 v[92:93], s[14:15], v[0:1]
	v_fmac_f64_e32 v[96:97], s[14:15], v[0:1]
	v_add_f64 v[0:1], v[72:73], v[86:87]
	v_fmac_f64_e32 v[72:73], -0.5, v[6:7]
	v_fma_f64 v[100:101], s[16:17], v[4:5], v[72:73]
	v_fmac_f64_e32 v[72:73], s[12:13], v[4:5]
	v_add_f64 v[0:1], v[0:1], v[88:89]
	v_fmac_f64_e32 v[100:101], s[2:3], v[2:3]
	v_fmac_f64_e32 v[72:73], s[18:19], v[2:3]
	v_add_f64 v[0:1], v[0:1], v[94:95]
	v_add_f64 v[2:3], v[74:75], v[80:81]
	v_add_f64 v[6:7], v[88:89], -v[86:87]
	v_add_f64 v[8:9], v[94:95], -v[104:105]
	v_add_f64 v[2:3], v[2:3], v[82:83]
	v_add_f64 v[106:107], v[0:1], v[104:105]
	;; [unrolled: 1-line block ×5, first 2 shown]
	v_fma_f64 v[98:99], -0.5, v[0:1], v[74:75]
	v_add_f64 v[0:1], v[86:87], -v[104:105]
	v_fmac_f64_e32 v[100:101], s[14:15], v[6:7]
	v_fmac_f64_e32 v[72:73], s[14:15], v[6:7]
	v_add_f64 v[108:109], v[2:3], v[90:91]
	v_add_f64 v[2:3], v[88:89], -v[94:95]
	v_add_f64 v[4:5], v[80:81], -v[82:83]
	;; [unrolled: 1-line block ×3, first 2 shown]
	v_fma_f64 v[94:95], s[16:17], v[0:1], v[98:99]
	v_fmac_f64_e32 v[98:99], s[12:13], v[0:1]
	v_add_f64 v[4:5], v[4:5], v[6:7]
	v_fmac_f64_e32 v[94:95], s[18:19], v[2:3]
	v_fmac_f64_e32 v[98:99], s[2:3], v[2:3]
	v_fmac_f64_e32 v[94:95], s[14:15], v[4:5]
	v_fmac_f64_e32 v[98:99], s[14:15], v[4:5]
	v_add_f64 v[4:5], v[80:81], v[90:91]
	v_fmac_f64_e32 v[74:75], -0.5, v[4:5]
	v_fma_f64 v[102:103], s[12:13], v[2:3], v[74:75]
	v_fmac_f64_e32 v[74:75], s[16:17], v[2:3]
	v_fmac_f64_e32 v[102:103], s[18:19], v[0:1]
	;; [unrolled: 1-line block ×3, first 2 shown]
	v_lshrrev_b32_e32 v0, 1, v176
	v_mul_u32_u24_e32 v0, 10, v0
	v_add_f64 v[4:5], v[82:83], -v[80:81]
	v_add_f64 v[6:7], v[84:85], -v[90:91]
	v_or_b32_e32 v0, v0, v10
	v_add_f64 v[4:5], v[4:5], v[6:7]
	v_lshlrev_b32_e32 v245, 4, v0
	v_mul_lo_u16_sdwa v0, v222, s20 dst_sel:DWORD dst_unused:UNUSED_PAD src0_sel:BYTE_0 src1_sel:DWORD
	v_fmac_f64_e32 v[102:103], s[14:15], v[4:5]
	v_fmac_f64_e32 v[74:75], s[14:15], v[4:5]
	v_lshrrev_b16_e32 v4, 11, v0
	v_mul_lo_u16_e32 v0, 10, v4
	v_sub_u16_e32 v0, v222, v0
	v_and_b32_e32 v5, 0xff, v0
	v_lshlrev_b32_e32 v0, 6, v5
	ds_write_b128 v244, v[116:119] offset:32
	ds_write_b128 v244, v[120:123] offset:64
	;; [unrolled: 1-line block ×4, first 2 shown]
	ds_write_b128 v245, v[106:109]
	ds_write_b128 v245, v[92:95] offset:32
	ds_write_b128 v245, v[100:103] offset:64
	ds_write_b128 v245, v[72:75] offset:96
	ds_write_b128 v245, v[96:99] offset:128
	s_waitcnt lgkmcnt(0)
	s_barrier
	global_load_dwordx4 v[80:83], v0, s[10:11] offset:128
	global_load_dwordx4 v[76:79], v0, s[10:11] offset:144
	;; [unrolled: 1-line block ×4, first 2 shown]
	s_mov_b32 s20, 0xcccd
	v_mul_u32_u24_sdwa v0, v176, s20 dst_sel:DWORD dst_unused:UNUSED_PAD src0_sel:WORD_0 src1_sel:DWORD
	v_lshrrev_b32_e32 v16, 19, v0
	v_mul_lo_u16_e32 v0, 10, v16
	v_sub_u16_e32 v17, v176, v0
	v_lshlrev_b16_e32 v0, 6, v17
	v_mov_b32_e32 v1, v223
	v_lshl_add_u64 v[0:1], s[10:11], 0, v[0:1]
	global_load_dwordx4 v[88:91], v[0:1], off offset:128
	global_load_dwordx4 v[92:95], v[0:1], off offset:144
	;; [unrolled: 1-line block ×4, first 2 shown]
	ds_read_b128 v[104:107], v220 offset:5600
	ds_read_b128 v[108:111], v220 offset:8400
	;; [unrolled: 1-line block ×6, first 2 shown]
	s_waitcnt vmcnt(7) lgkmcnt(5)
	v_mul_f64 v[0:1], v[106:107], v[82:83]
	v_mul_f64 v[128:129], v[104:105], v[82:83]
	v_fma_f64 v[130:131], v[104:105], v[80:81], -v[0:1]
	v_fmac_f64_e32 v[128:129], v[106:107], v[80:81]
	s_waitcnt vmcnt(6) lgkmcnt(3)
	v_mul_f64 v[0:1], v[114:115], v[78:79]
	ds_read_b128 v[104:107], v220 offset:16800
	v_mul_f64 v[132:133], v[112:113], v[78:79]
	v_fma_f64 v[134:135], v[112:113], v[76:77], -v[0:1]
	v_fmac_f64_e32 v[132:133], v[114:115], v[76:77]
	ds_read_b128 v[112:115], v220 offset:22400
	s_waitcnt vmcnt(5) lgkmcnt(1)
	v_mul_f64 v[0:1], v[106:107], v[74:75]
	v_mul_f64 v[136:137], v[104:105], v[74:75]
	v_fma_f64 v[138:139], v[104:105], v[72:73], -v[0:1]
	v_fmac_f64_e32 v[136:137], v[106:107], v[72:73]
	s_waitcnt vmcnt(4) lgkmcnt(0)
	v_mul_f64 v[0:1], v[114:115], v[86:87]
	ds_read_b128 v[104:107], v220
	v_fma_f64 v[142:143], v[112:113], v[84:85], -v[0:1]
	v_mul_f64 v[140:141], v[112:113], v[86:87]
	s_waitcnt vmcnt(3)
	v_mul_f64 v[0:1], v[110:111], v[90:91]
	v_fmac_f64_e32 v[140:141], v[114:115], v[84:85]
	v_fma_f64 v[114:115], v[108:109], v[88:89], -v[0:1]
	s_waitcnt vmcnt(2)
	v_mul_f64 v[0:1], v[122:123], v[94:95]
	v_mul_f64 v[108:109], v[108:109], v[90:91]
	v_fma_f64 v[118:119], v[120:121], v[92:93], -v[0:1]
	s_waitcnt vmcnt(1)
	v_mul_f64 v[0:1], v[146:147], v[98:99]
	v_fmac_f64_e32 v[108:109], v[110:111], v[88:89]
	v_mul_f64 v[110:111], v[120:121], v[94:95]
	v_fma_f64 v[124:125], v[144:145], v[96:97], -v[0:1]
	s_waitcnt vmcnt(0)
	v_mul_f64 v[0:1], v[150:151], v[102:103]
	v_fmac_f64_e32 v[110:111], v[122:123], v[92:93]
	ds_read_b128 v[120:123], v220 offset:2800
	v_fma_f64 v[126:127], v[148:149], v[100:101], -v[0:1]
	s_waitcnt lgkmcnt(1)
	v_add_f64 v[0:1], v[104:105], v[130:131]
	v_add_f64 v[0:1], v[0:1], v[134:135]
	;; [unrolled: 1-line block ×5, first 2 shown]
	v_mul_f64 v[112:113], v[144:145], v[98:99]
	v_add_f64 v[2:3], v[2:3], v[136:137]
	v_add_f64 v[144:145], v[0:1], v[142:143]
	v_mul_u32_u24_e32 v0, 50, v4
	v_fmac_f64_e32 v[112:113], v[146:147], v[96:97]
	v_add_f64 v[146:147], v[2:3], v[140:141]
	v_add_lshl_u32 v247, v0, v5, 4
	v_add_f64 v[0:1], v[130:131], -v[134:135]
	v_add_f64 v[2:3], v[142:143], -v[138:139]
	v_add_f64 v[0:1], v[0:1], v[2:3]
	v_add_f64 v[2:3], v[134:135], v[138:139]
	s_waitcnt lgkmcnt(0)
	s_barrier
	ds_write_b128 v247, v[144:147]
	v_fma_f64 v[144:145], -0.5, v[2:3], v[104:105]
	v_add_f64 v[2:3], v[132:133], v[136:137]
	v_fma_f64 v[146:147], -0.5, v[2:3], v[106:107]
	v_add_f64 v[2:3], v[128:129], -v[132:133]
	v_add_f64 v[4:5], v[140:141], -v[136:137]
	v_add_f64 v[12:13], v[130:131], v[142:143]
	v_add_f64 v[2:3], v[2:3], v[4:5]
	v_add_f64 v[4:5], v[128:129], -v[140:141]
	v_fmac_f64_e32 v[104:105], -0.5, v[12:13]
	v_add_f64 v[12:13], v[134:135], -v[130:131]
	v_add_f64 v[14:15], v[138:139], -v[142:143]
	v_mul_f64 v[116:117], v[148:149], v[102:103]
	v_add_f64 v[6:7], v[132:133], -v[136:137]
	v_fma_f64 v[148:149], s[12:13], v[4:5], v[144:145]
	v_add_f64 v[8:9], v[130:131], -v[142:143]
	v_add_f64 v[12:13], v[12:13], v[14:15]
	v_add_f64 v[14:15], v[128:129], v[140:141]
	v_fmac_f64_e32 v[144:145], s[16:17], v[4:5]
	v_fmac_f64_e32 v[116:117], v[150:151], v[100:101]
	;; [unrolled: 1-line block ×3, first 2 shown]
	v_fma_f64 v[150:151], s[16:17], v[8:9], v[146:147]
	v_add_f64 v[10:11], v[134:135], -v[138:139]
	v_fmac_f64_e32 v[106:107], -0.5, v[14:15]
	v_add_f64 v[14:15], v[132:133], -v[128:129]
	v_add_f64 v[128:129], v[136:137], -v[140:141]
	v_fmac_f64_e32 v[144:145], s[18:19], v[6:7]
	v_fmac_f64_e32 v[146:147], s[12:13], v[8:9]
	;; [unrolled: 1-line block ×4, first 2 shown]
	v_add_f64 v[14:15], v[14:15], v[128:129]
	v_fma_f64 v[128:129], s[16:17], v[6:7], v[104:105]
	v_fma_f64 v[130:131], s[12:13], v[10:11], v[106:107]
	v_fmac_f64_e32 v[104:105], s[12:13], v[6:7]
	v_fmac_f64_e32 v[106:107], s[16:17], v[10:11]
	;; [unrolled: 1-line block ×4, first 2 shown]
	v_add_f64 v[0:1], v[120:121], v[114:115]
	v_fmac_f64_e32 v[150:151], s[14:15], v[2:3]
	v_fmac_f64_e32 v[104:105], s[18:19], v[4:5]
	;; [unrolled: 1-line block ×4, first 2 shown]
	v_add_f64 v[0:1], v[0:1], v[118:119]
	v_add_f64 v[2:3], v[122:123], v[108:109]
	v_fmac_f64_e32 v[104:105], s[14:15], v[12:13]
	v_fmac_f64_e32 v[106:107], s[14:15], v[14:15]
	v_add_f64 v[0:1], v[0:1], v[124:125]
	v_add_f64 v[2:3], v[2:3], v[110:111]
	ds_write_b128 v247, v[104:107] offset:480
	v_add_f64 v[2:3], v[2:3], v[112:113]
	v_add_f64 v[104:105], v[0:1], v[126:127]
	v_mad_legacy_u16 v0, v16, 50, v17
	v_add_f64 v[106:107], v[2:3], v[116:117]
	v_lshlrev_b32_e32 v248, 4, v0
	v_add_f64 v[0:1], v[114:115], -v[118:119]
	v_add_f64 v[2:3], v[126:127], -v[124:125]
	v_add_f64 v[0:1], v[0:1], v[2:3]
	v_add_f64 v[2:3], v[118:119], v[124:125]
	v_fma_f64 v[140:141], -0.5, v[2:3], v[120:121]
	v_add_f64 v[2:3], v[110:111], v[112:113]
	v_fmac_f64_e32 v[128:129], s[2:3], v[4:5]
	v_fmac_f64_e32 v[130:131], s[18:19], v[8:9]
	v_fma_f64 v[142:143], -0.5, v[2:3], v[122:123]
	v_add_f64 v[2:3], v[108:109], -v[110:111]
	v_add_f64 v[4:5], v[116:117], -v[112:113]
	v_fmac_f64_e32 v[128:129], s[14:15], v[12:13]
	v_fmac_f64_e32 v[130:131], s[14:15], v[14:15]
	v_add_f64 v[2:3], v[2:3], v[4:5]
	v_add_f64 v[4:5], v[108:109], -v[116:117]
	ds_write_b128 v247, v[148:151] offset:160
	ds_write_b128 v247, v[128:131] offset:320
	;; [unrolled: 1-line block ×3, first 2 shown]
	ds_write_b128 v248, v[104:107]
	v_add_f64 v[6:7], v[110:111], -v[112:113]
	v_fma_f64 v[104:105], s[12:13], v[4:5], v[140:141]
	v_fmac_f64_e32 v[140:141], s[16:17], v[4:5]
	v_fmac_f64_e32 v[104:105], s[2:3], v[6:7]
	;; [unrolled: 1-line block ×5, first 2 shown]
	v_add_f64 v[0:1], v[114:115], v[126:127]
	v_fmac_f64_e32 v[120:121], -0.5, v[0:1]
	v_add_f64 v[0:1], v[118:119], -v[114:115]
	v_add_f64 v[12:13], v[124:125], -v[126:127]
	v_fma_f64 v[152:153], s[16:17], v[6:7], v[120:121]
	v_fmac_f64_e32 v[120:121], s[12:13], v[6:7]
	v_add_f64 v[8:9], v[114:115], -v[126:127]
	v_add_f64 v[0:1], v[0:1], v[12:13]
	v_fmac_f64_e32 v[152:153], s[2:3], v[4:5]
	v_fmac_f64_e32 v[120:121], s[18:19], v[4:5]
	v_fma_f64 v[106:107], s[16:17], v[8:9], v[142:143]
	v_add_f64 v[10:11], v[118:119], -v[124:125]
	v_fmac_f64_e32 v[152:153], s[14:15], v[0:1]
	v_fmac_f64_e32 v[120:121], s[14:15], v[0:1]
	v_fmac_f64_e32 v[142:143], s[12:13], v[8:9]
	v_add_f64 v[0:1], v[108:109], v[116:117]
	v_fmac_f64_e32 v[106:107], s[18:19], v[10:11]
	v_fmac_f64_e32 v[142:143], s[2:3], v[10:11]
	v_fmac_f64_e32 v[122:123], -0.5, v[0:1]
	v_fmac_f64_e32 v[106:107], s[14:15], v[2:3]
	v_fmac_f64_e32 v[142:143], s[14:15], v[2:3]
	v_add_f64 v[0:1], v[110:111], -v[108:109]
	v_add_f64 v[2:3], v[112:113], -v[116:117]
	v_fma_f64 v[154:155], s[12:13], v[10:11], v[122:123]
	v_add_f64 v[0:1], v[0:1], v[2:3]
	v_fmac_f64_e32 v[122:123], s[16:17], v[10:11]
	v_fmac_f64_e32 v[154:155], s[18:19], v[8:9]
	;; [unrolled: 1-line block ×4, first 2 shown]
	ds_write_b128 v248, v[104:107] offset:160
	v_fmac_f64_e32 v[122:123], s[14:15], v[0:1]
	ds_write_b128 v248, v[152:155] offset:320
	ds_write_b128 v248, v[120:123] offset:480
	;; [unrolled: 1-line block ×3, first 2 shown]
	s_waitcnt lgkmcnt(0)
	s_barrier
	ds_read_b128 v[156:159], v220
	ds_read_b128 v[148:151], v220 offset:4000
	ds_read_b128 v[144:147], v220 offset:8000
	;; [unrolled: 1-line block ×6, first 2 shown]
	s_load_dwordx2 s[2:3], s[0:1], 0x38
	s_movk_i32 s0, 0x4b
	v_cmp_gt_u16_e32 vcc, s0, v222
	s_and_saveexec_b64 s[0:1], vcc
	s_cbranch_execz .LBB0_3
; %bb.2:
	ds_read_b128 v[152:155], v220 offset:2800
	ds_read_b128 v[120:123], v220 offset:6800
	ds_read_b128 v[140:143], v220 offset:10800
	ds_read_b128 v[168:171], v220 offset:14800
	ds_read_b128 v[172:175], v220 offset:18800
	ds_read_b128 v[164:167], v220 offset:22800
	ds_read_b128 v[160:163], v220 offset:26800
.LBB0_3:
	s_or_b64 exec, exec, s[0:1]
	v_add_u32_e32 v0, 0x41a0, v177
	v_accvgpr_write_b32 a22, v0
	v_mov_b32_e32 v0, 41
	v_mul_lo_u16_sdwa v0, v222, v0 dst_sel:DWORD dst_unused:UNUSED_PAD src0_sel:BYTE_0 src1_sel:DWORD
	v_add_u32_e32 v223, 0x2bc0, v177
	v_add_u32_e32 v246, 0x5780, v177
	v_lshrrev_b16_e32 v177, 11, v0
	v_mul_lo_u16_e32 v0, 50, v177
	v_sub_u16_e32 v0, v222, v0
	v_and_b32_e32 v214, 0xff, v0
	s_movk_i32 s0, 0x60
	v_mov_b64_e32 v[0:1], s[10:11]
	v_mad_u64_u32 v[0:1], s[0:1], v214, s0, v[0:1]
	global_load_dwordx4 v[124:127], v[0:1], off offset:816
	global_load_dwordx4 v[128:131], v[0:1], off offset:800
	;; [unrolled: 1-line block ×4, first 2 shown]
	v_mov_b32_e32 v179, 0
	s_mov_b32 s16, 0xe976ee23
	s_mov_b32 s12, 0x37e14327
	;; [unrolled: 1-line block ×20, first 2 shown]
	s_waitcnt vmcnt(3) lgkmcnt(0)
	v_mul_f64 v[194:195], v[112:113], v[126:127]
	s_waitcnt vmcnt(2)
	v_mul_f64 v[190:191], v[116:117], v[130:131]
	s_waitcnt vmcnt(1)
	;; [unrolled: 2-line block ×3, first 2 shown]
	v_mul_f64 v[2:3], v[150:151], v[138:139]
	v_fma_f64 v[180:181], v[148:149], v[136:137], -v[2:3]
	v_mul_f64 v[182:183], v[148:149], v[138:139]
	v_mul_f64 v[2:3], v[146:147], v[134:135]
	v_fmac_f64_e32 v[182:183], v[150:151], v[136:137]
	v_fma_f64 v[184:185], v[144:145], v[132:133], -v[2:3]
	v_fmac_f64_e32 v[186:187], v[146:147], v[132:133]
	global_load_dwordx4 v[144:147], v[0:1], off offset:848
	global_load_dwordx4 v[148:151], v[0:1], off offset:832
	v_mul_f64 v[2:3], v[118:119], v[130:131]
	v_fma_f64 v[188:189], v[116:117], v[128:129], -v[2:3]
	v_mul_f64 v[2:3], v[114:115], v[126:127]
	v_fmac_f64_e32 v[190:191], v[118:119], v[128:129]
	v_fma_f64 v[192:193], v[112:113], v[124:125], -v[2:3]
	v_fmac_f64_e32 v[194:195], v[114:115], v[124:125]
	s_waitcnt vmcnt(1)
	v_mul_f64 v[212:213], v[104:105], v[146:147]
	s_waitcnt vmcnt(0)
	v_mul_f64 v[0:1], v[110:111], v[150:151]
	v_fma_f64 v[206:207], v[108:109], v[148:149], -v[0:1]
	v_mul_f64 v[0:1], v[106:107], v[146:147]
	v_fma_f64 v[210:211], v[104:105], v[144:145], -v[0:1]
	v_lshrrev_b16_e32 v0, 1, v176
	v_mul_u32_u24_e32 v0, 0x147b, v0
	v_lshrrev_b32_e32 v0, 17, v0
	v_accvgpr_write_b32 a20, v0
	v_mul_lo_u16_e32 v0, 50, v0
	v_sub_u16_e32 v0, v176, v0
	v_mul_lo_u16_e32 v178, 0x60, v0
	v_mul_f64 v[208:209], v[108:109], v[150:151]
	v_accvgpr_write_b32 a21, v0
	v_lshl_add_u64 v[0:1], s[10:11], 0, v[178:179]
	v_fmac_f64_e32 v[208:209], v[110:111], v[148:149]
	v_fmac_f64_e32 v[212:213], v[106:107], v[144:145]
	global_load_dwordx4 v[104:107], v[0:1], off offset:816
	global_load_dwordx4 v[108:111], v[0:1], off offset:800
	;; [unrolled: 1-line block ×4, first 2 shown]
	v_add_f64 v[6:7], v[180:181], v[210:211]
	v_add_f64 v[14:15], v[184:185], v[206:207]
	;; [unrolled: 1-line block ×3, first 2 shown]
	v_add_f64 v[10:11], v[180:181], -v[210:211]
	v_add_f64 v[12:13], v[182:183], -v[212:213]
	v_add_f64 v[180:181], v[190:191], v[194:195]
	v_add_f64 v[182:183], v[192:193], -v[188:189]
	v_add_f64 v[212:213], v[10:11], -v[182:183]
	s_waitcnt vmcnt(1)
	v_mul_f64 v[202:203], v[140:141], v[114:115]
	s_waitcnt vmcnt(0)
	v_mul_f64 v[2:3], v[122:123], v[118:119]
	v_fma_f64 v[196:197], v[120:121], v[116:117], -v[2:3]
	v_mul_f64 v[198:199], v[120:121], v[118:119]
	v_mul_f64 v[2:3], v[142:143], v[114:115]
	v_fmac_f64_e32 v[198:199], v[122:123], v[116:117]
	v_fma_f64 v[200:201], v[140:141], v[112:113], -v[2:3]
	v_fmac_f64_e32 v[202:203], v[142:143], v[112:113]
	global_load_dwordx4 v[120:123], v[0:1], off offset:848
	global_load_dwordx4 v[140:143], v[0:1], off offset:832
	v_mul_f64 v[2:3], v[170:171], v[110:111]
	v_fma_f64 v[204:205], v[168:169], v[108:109], -v[2:3]
	v_mul_f64 v[168:169], v[168:169], v[110:111]
	v_mul_f64 v[2:3], v[174:175], v[106:107]
	v_fmac_f64_e32 v[168:169], v[170:171], v[108:109]
	v_fma_f64 v[170:171], v[172:173], v[104:105], -v[2:3]
	v_mul_f64 v[172:173], v[172:173], v[106:107]
	v_fmac_f64_e32 v[172:173], v[174:175], v[104:105]
	s_barrier
	s_waitcnt vmcnt(1)
	v_mul_f64 v[2:3], v[162:163], v[122:123]
	s_waitcnt vmcnt(0)
	v_mul_f64 v[0:1], v[166:167], v[142:143]
	v_fma_f64 v[174:175], v[164:165], v[140:141], -v[0:1]
	v_mul_f64 v[0:1], v[164:165], v[142:143]
	v_fmac_f64_e32 v[0:1], v[166:167], v[140:141]
	v_fma_f64 v[2:3], v[160:161], v[120:121], -v[2:3]
	v_mul_f64 v[4:5], v[160:161], v[122:123]
	v_add_f64 v[160:161], v[186:187], v[208:209]
	v_add_f64 v[164:165], v[186:187], -v[208:209]
	v_add_f64 v[166:167], v[188:189], v[192:193]
	v_add_f64 v[186:187], v[14:15], v[6:7]
	v_fmac_f64_e32 v[4:5], v[162:163], v[120:121]
	v_add_f64 v[162:163], v[184:185], -v[206:207]
	v_add_f64 v[184:185], v[194:195], -v[190:191]
	v_add_f64 v[188:189], v[160:161], v[8:9]
	v_add_f64 v[190:191], v[14:15], -v[6:7]
	v_add_f64 v[6:7], v[6:7], -v[166:167]
	v_add_f64 v[14:15], v[166:167], -v[14:15]
	v_add_f64 v[166:167], v[166:167], v[186:187]
	v_add_f64 v[192:193], v[160:161], -v[8:9]
	;; [unrolled: 4-line block ×3, first 2 shown]
	v_add_f64 v[186:187], v[180:181], v[188:189]
	v_add_f64 v[180:181], v[156:157], v[166:167]
	v_add_f64 v[210:211], v[184:185], -v[164:165]
	v_add_f64 v[162:163], v[162:163], -v[10:11]
	v_add_f64 v[10:11], v[194:195], v[10:11]
	v_add_f64 v[182:183], v[158:159], v[186:187]
	v_mul_f64 v[194:195], v[208:209], s[16:17]
	v_mov_b64_e32 v[208:209], v[180:181]
	v_add_f64 v[206:207], v[184:185], v[164:165]
	v_add_f64 v[184:185], v[12:13], -v[184:185]
	v_add_f64 v[164:165], v[164:165], -v[12:13]
	v_mul_f64 v[6:7], v[6:7], s[12:13]
	v_mul_f64 v[8:9], v[8:9], s[12:13]
	;; [unrolled: 1-line block ×3, first 2 shown]
	v_fmac_f64_e32 v[208:209], s[18:19], v[166:167]
	v_mov_b64_e32 v[166:167], v[182:183]
	v_add_f64 v[12:13], v[206:207], v[12:13]
	v_mul_f64 v[156:157], v[14:15], s[0:1]
	v_mul_f64 v[158:159], v[160:161], s[0:1]
	;; [unrolled: 1-line block ×4, first 2 shown]
	v_fmac_f64_e32 v[166:167], s[18:19], v[186:187]
	v_fma_f64 v[186:187], v[190:191], s[22:23], -v[6:7]
	v_fmac_f64_e32 v[6:7], s[0:1], v[14:15]
	v_fma_f64 v[14:15], v[192:193], s[22:23], -v[8:9]
	v_fmac_f64_e32 v[8:9], s[0:1], v[160:161]
	v_fma_f64 v[160:161], v[162:163], s[14:15], -v[194:195]
	v_fmac_f64_e32 v[194:195], s[24:25], v[212:213]
	v_fma_f64 v[162:163], v[164:165], s[14:15], -v[230:231]
	v_fmac_f64_e32 v[230:231], s[24:25], v[184:185]
	v_fma_f64 v[156:157], v[190:191], s[20:21], -v[156:157]
	v_fma_f64 v[158:159], v[192:193], s[20:21], -v[158:159]
	v_fma_f64 v[164:165], v[212:213], s[28:29], -v[188:189]
	;; [unrolled: 1-line block ×3, first 2 shown]
	v_add_f64 v[6:7], v[6:7], v[208:209]
	v_add_f64 v[8:9], v[8:9], v[166:167]
	v_fmac_f64_e32 v[194:195], s[26:27], v[10:11]
	v_fmac_f64_e32 v[230:231], s[26:27], v[12:13]
	v_add_f64 v[156:157], v[156:157], v[208:209]
	v_add_f64 v[158:159], v[158:159], v[166:167]
	;; [unrolled: 1-line block ×3, first 2 shown]
	v_fmac_f64_e32 v[160:161], s[26:27], v[10:11]
	v_fmac_f64_e32 v[162:163], s[26:27], v[12:13]
	v_fmac_f64_e32 v[164:165], s[26:27], v[10:11]
	v_fmac_f64_e32 v[184:185], s[26:27], v[12:13]
	v_add_f64 v[188:189], v[230:231], v[6:7]
	v_add_f64 v[190:191], v[8:9], -v[194:195]
	v_add_f64 v[230:231], v[6:7], -v[230:231]
	v_add_f64 v[232:233], v[194:195], v[8:9]
	v_add_f64 v[6:7], v[196:197], v[2:3]
	;; [unrolled: 1-line block ×6, first 2 shown]
	v_add_f64 v[208:209], v[14:15], -v[164:165]
	v_add_f64 v[210:211], v[156:157], -v[162:163]
	v_add_f64 v[212:213], v[160:161], v[158:159]
	v_add_f64 v[216:217], v[162:163], v[156:157]
	v_add_f64 v[218:219], v[158:159], -v[160:161]
	v_add_f64 v[228:229], v[164:165], v[14:15]
	v_add_f64 v[14:15], v[200:201], -v[174:175]
	v_add_f64 v[0:1], v[202:203], -v[0:1]
	v_add_f64 v[156:157], v[204:205], v[170:171]
	v_add_f64 v[158:159], v[168:169], v[172:173]
	v_add_f64 v[160:161], v[170:171], -v[204:205]
	v_add_f64 v[162:163], v[172:173], -v[168:169]
	v_add_f64 v[164:165], v[10:11], v[6:7]
	v_add_f64 v[166:167], v[12:13], v[8:9]
	v_add_f64 v[206:207], v[184:185], v[186:187]
	v_add_f64 v[226:227], v[186:187], -v[184:185]
	v_add_f64 v[2:3], v[196:197], -v[2:3]
	;; [unrolled: 1-line block ×8, first 2 shown]
	v_add_f64 v[172:173], v[160:161], v[14:15]
	v_add_f64 v[186:187], v[162:163], -v[0:1]
	v_add_f64 v[164:165], v[156:157], v[164:165]
	v_add_f64 v[158:159], v[158:159], v[166:167]
	v_add_f64 v[6:7], v[6:7], -v[156:157]
	v_add_f64 v[174:175], v[162:163], v[0:1]
	v_add_f64 v[184:185], v[160:161], -v[14:15]
	v_add_f64 v[160:161], v[2:3], -v[160:161]
	;; [unrolled: 1-line block ×4, first 2 shown]
	v_add_f64 v[2:3], v[172:173], v[2:3]
	v_add_f64 v[152:153], v[152:153], v[164:165]
	v_add_f64 v[154:155], v[154:155], v[158:159]
	v_mul_f64 v[8:9], v[8:9], s[12:13]
	v_mul_f64 v[166:167], v[10:11], s[0:1]
	;; [unrolled: 1-line block ×4, first 2 shown]
	v_add_f64 v[162:163], v[4:5], -v[162:163]
	v_add_f64 v[4:5], v[174:175], v[4:5]
	v_mul_f64 v[6:7], v[6:7], s[12:13]
	v_mul_f64 v[174:175], v[184:185], s[16:17]
	;; [unrolled: 1-line block ×4, first 2 shown]
	v_fma_f64 v[192:193], s[18:19], v[164:165], v[152:153]
	v_fma_f64 v[194:195], s[18:19], v[158:159], v[154:155]
	v_fma_f64 v[196:197], v[168:169], s[20:21], -v[166:167]
	v_fma_f64 v[172:173], v[170:171], s[20:21], -v[172:173]
	;; [unrolled: 1-line block ×3, first 2 shown]
	v_fmac_f64_e32 v[8:9], s[0:1], v[12:13]
	v_fma_f64 v[0:1], v[0:1], s[14:15], -v[156:157]
	v_fma_f64 v[10:11], s[0:1], v[10:11], v[6:7]
	v_fma_f64 v[6:7], v[168:169], s[22:23], -v[6:7]
	v_fma_f64 v[158:159], s[24:25], v[160:161], v[174:175]
	v_fma_f64 v[12:13], v[14:15], s[14:15], -v[174:175]
	v_fmac_f64_e32 v[156:157], s[24:25], v[162:163]
	v_fma_f64 v[166:167], v[160:161], s[28:29], -v[184:185]
	v_fma_f64 v[164:165], v[162:163], s[28:29], -v[186:187]
	v_add_f64 v[162:163], v[8:9], v[194:195]
	v_add_f64 v[8:9], v[196:197], v[192:193]
	v_fmac_f64_e32 v[0:1], s[26:27], v[4:5]
	v_add_f64 v[160:161], v[10:11], v[192:193]
	v_add_f64 v[10:11], v[172:173], v[194:195]
	;; [unrolled: 1-line block ×4, first 2 shown]
	v_fmac_f64_e32 v[158:159], s[26:27], v[2:3]
	v_fmac_f64_e32 v[156:157], s[26:27], v[4:5]
	;; [unrolled: 1-line block ×5, first 2 shown]
	v_add_f64 v[172:173], v[8:9], -v[0:1]
	v_add_f64 v[184:185], v[0:1], v[8:9]
	v_mul_u32_u24_e32 v0, 0x15e, v177
	v_add_f64 v[174:175], v[12:13], v[10:11]
	v_add_f64 v[186:187], v[10:11], -v[12:13]
	v_add_f64 v[192:193], v[168:169], -v[164:165]
	v_add_f64 v[194:195], v[166:167], v[170:171]
	v_add_f64 v[196:197], v[160:161], -v[156:157]
	v_add_f64 v[198:199], v[158:159], v[162:163]
	s_movk_i32 s12, 0x15e
	v_add_lshl_u32 v249, v0, v214, 4
	ds_write_b128 v249, v[180:183]
	ds_write_b128 v249, v[188:191] offset:800
	ds_write_b128 v249, v[206:209] offset:1600
	;; [unrolled: 1-line block ×6, first 2 shown]
	s_and_saveexec_b64 s[0:1], vcc
	s_cbranch_execz .LBB0_5
; %bb.4:
	v_accvgpr_read_b32 v0, a20
	v_accvgpr_read_b32 v1, a21
	v_mad_legacy_u16 v0, v0, s12, v1
	v_lshlrev_b32_e32 v0, 4, v0
	v_add_f64 v[166:167], v[170:171], -v[166:167]
	v_add_f64 v[164:165], v[164:165], v[168:169]
	v_add_f64 v[158:159], v[162:163], -v[158:159]
	v_add_f64 v[156:157], v[156:157], v[160:161]
	ds_write_b128 v0, v[152:155]
	ds_write_b128 v0, v[156:159] offset:800
	ds_write_b128 v0, v[164:167] offset:1600
	;; [unrolled: 1-line block ×6, first 2 shown]
.LBB0_5:
	s_or_b64 exec, exec, s[0:1]
	v_lshlrev_b32_e32 v178, 4, v222
	v_lshl_add_u64 v[226:227], s[8:9], 0, v[178:179]
	v_lshlrev_b32_e32 v178, 6, v222
	v_lshl_add_u64 v[0:1], s[10:11], 0, v[178:179]
	s_movk_i32 s12, 0x1000
	s_mov_b64 s[8:9], 0x15c0
	v_add_co_u32_e64 v2, s[0:1], s12, v0
	v_lshlrev_b32_e32 v178, 6, v176
	s_nop 0
	v_addc_co_u32_e64 v3, s[0:1], 0, v1, s[0:1]
	v_lshl_add_u64 v[0:1], v[0:1], 0, s[8:9]
	s_waitcnt lgkmcnt(0)
	s_barrier
	global_load_dwordx4 v[152:155], v[2:3], off offset:1472
	global_load_dwordx4 v[164:167], v[0:1], off offset:16
	;; [unrolled: 1-line block ×4, first 2 shown]
	v_lshl_add_u64 v[0:1], s[10:11], 0, v[178:179]
	v_add_co_u32_e64 v2, s[0:1], s12, v0
	s_mov_b32 s10, 0x4755a5e
	s_nop 0
	v_addc_co_u32_e64 v3, s[0:1], 0, v1, s[0:1]
	v_lshl_add_u64 v[0:1], v[0:1], 0, s[8:9]
	global_load_dwordx4 v[168:171], v[2:3], off offset:1472
	global_load_dwordx4 v[188:191], v[0:1], off offset:16
	;; [unrolled: 1-line block ×4, first 2 shown]
	ds_read_b128 v[204:207], v220
	ds_read_b128 v[200:203], v220 offset:2800
	ds_read_b128 v[208:211], v220 offset:5600
	;; [unrolled: 1-line block ×9, first 2 shown]
	s_mov_b32 s8, 0x134454ff
	s_mov_b32 s9, 0x3fee6f0e
	s_mov_b32 s17, 0xbfee6f0e
	s_mov_b32 s16, s8
	s_mov_b32 s11, 0x3fe2cf23
	s_mov_b32 s12, 0x372fe950
	s_mov_b32 s15, 0xbfe2cf23
	s_mov_b32 s14, s10
	s_mov_b32 s13, 0x3fd3c6ef
	s_movk_i32 s0, 0x6000
	s_waitcnt vmcnt(6) lgkmcnt(5)
	v_mul_f64 v[8:9], v[218:219], v[166:167]
	v_mul_f64 v[4:5], v[210:211], v[154:155]
	;; [unrolled: 1-line block ×3, first 2 shown]
	s_waitcnt vmcnt(5) lgkmcnt(3)
	v_mul_f64 v[12:13], v[230:231], v[162:163]
	s_waitcnt vmcnt(4) lgkmcnt(1)
	v_mul_f64 v[254:255], v[232:233], v[158:159]
	v_fma_f64 v[4:5], v[208:209], v[152:153], -v[4:5]
	v_fma_f64 v[8:9], v[216:217], v[164:165], -v[8:9]
	v_mul_f64 v[6:7], v[208:209], v[154:155]
	v_mul_f64 v[236:237], v[234:235], v[158:159]
	v_fma_f64 v[12:13], v[228:229], v[160:161], -v[12:13]
	v_fmac_f64_e32 v[254:255], v[234:235], v[156:157]
	s_waitcnt vmcnt(0) lgkmcnt(0)
	v_mul_f64 v[216:217], v[2:3], v[178:179]
	v_mul_f64 v[234:235], v[0:1], v[178:179]
	v_fma_f64 v[242:243], v[0:1], v[176:177], -v[216:217]
	v_add_f64 v[0:1], v[204:205], v[4:5]
	v_mul_f64 v[14:15], v[228:229], v[162:163]
	v_fmac_f64_e32 v[6:7], v[210:211], v[152:153]
	v_fma_f64 v[16:17], v[232:233], v[156:157], -v[236:237]
	v_mul_f64 v[18:19], v[214:215], v[170:171]
	v_mul_f64 v[228:229], v[212:213], v[170:171]
	;; [unrolled: 1-line block ×3, first 2 shown]
	v_fmac_f64_e32 v[234:235], v[2:3], v[176:177]
	v_add_f64 v[2:3], v[8:9], v[12:13]
	v_add_f64 v[0:1], v[0:1], v[8:9]
	v_fmac_f64_e32 v[10:11], v[218:219], v[164:165]
	v_fmac_f64_e32 v[14:15], v[230:231], v[160:161]
	v_mul_f64 v[230:231], v[238:239], v[190:191]
	v_mul_f64 v[210:211], v[252:253], v[182:183]
	v_fma_f64 v[236:237], v[212:213], v[168:169], -v[18:19]
	v_fmac_f64_e32 v[228:229], v[214:215], v[168:169]
	v_fma_f64 v[238:239], v[238:239], v[188:189], -v[208:209]
	v_add_f64 v[18:19], v[6:7], -v[254:255]
	v_add_f64 v[212:213], v[4:5], -v[8:9]
	;; [unrolled: 1-line block ×3, first 2 shown]
	v_fma_f64 v[208:209], -0.5, v[2:3], v[204:205]
	v_add_f64 v[0:1], v[0:1], v[12:13]
	v_fmac_f64_e32 v[230:231], v[240:241], v[188:189]
	v_fma_f64 v[240:241], v[250:251], v[180:181], -v[210:211]
	v_add_f64 v[210:211], v[10:11], -v[14:15]
	v_add_f64 v[2:3], v[212:213], v[214:215]
	v_fma_f64 v[212:213], s[8:9], v[18:19], v[208:209]
	v_add_f64 v[216:217], v[0:1], v[16:17]
	v_fmac_f64_e32 v[208:209], s[16:17], v[18:19]
	v_add_f64 v[0:1], v[4:5], v[16:17]
	v_fmac_f64_e32 v[212:213], s[10:11], v[210:211]
	v_fmac_f64_e32 v[208:209], s[14:15], v[210:211]
	v_fmac_f64_e32 v[204:205], -0.5, v[0:1]
	v_fmac_f64_e32 v[212:213], s[12:13], v[2:3]
	v_fmac_f64_e32 v[208:209], s[12:13], v[2:3]
	v_fma_f64 v[0:1], s[16:17], v[210:211], v[204:205]
	v_add_f64 v[2:3], v[8:9], -v[4:5]
	v_add_f64 v[214:215], v[12:13], -v[16:17]
	v_fmac_f64_e32 v[204:205], s[8:9], v[210:211]
	v_fmac_f64_e32 v[0:1], s[10:11], v[18:19]
	v_add_f64 v[2:3], v[2:3], v[214:215]
	v_fmac_f64_e32 v[204:205], s[14:15], v[18:19]
	v_fmac_f64_e32 v[0:1], s[12:13], v[2:3]
	;; [unrolled: 1-line block ×3, first 2 shown]
	v_add_f64 v[2:3], v[206:207], v[6:7]
	v_add_f64 v[2:3], v[2:3], v[10:11]
	;; [unrolled: 1-line block ×5, first 2 shown]
	v_fma_f64 v[210:211], -0.5, v[2:3], v[206:207]
	v_add_f64 v[4:5], v[4:5], -v[16:17]
	v_fma_f64 v[214:215], s[16:17], v[4:5], v[210:211]
	v_add_f64 v[8:9], v[8:9], -v[12:13]
	v_add_f64 v[2:3], v[6:7], -v[10:11]
	;; [unrolled: 1-line block ×3, first 2 shown]
	v_fmac_f64_e32 v[210:211], s[8:9], v[4:5]
	v_fmac_f64_e32 v[214:215], s[14:15], v[8:9]
	v_add_f64 v[2:3], v[2:3], v[12:13]
	v_fmac_f64_e32 v[210:211], s[10:11], v[8:9]
	v_fmac_f64_e32 v[214:215], s[12:13], v[2:3]
	;; [unrolled: 1-line block ×3, first 2 shown]
	v_add_f64 v[2:3], v[6:7], v[254:255]
	v_fmac_f64_e32 v[206:207], -0.5, v[2:3]
	v_fma_f64 v[2:3], s[8:9], v[8:9], v[206:207]
	v_fmac_f64_e32 v[206:207], s[16:17], v[8:9]
	v_fmac_f64_e32 v[2:3], s[14:15], v[4:5]
	;; [unrolled: 1-line block ×3, first 2 shown]
	v_add_f64 v[4:5], v[200:201], v[236:237]
	v_add_f64 v[4:5], v[4:5], v[238:239]
	v_add_f64 v[6:7], v[10:11], -v[6:7]
	v_add_f64 v[10:11], v[14:15], -v[254:255]
	v_add_f64 v[4:5], v[4:5], v[240:241]
	v_mul_f64 v[232:233], v[250:251], v[182:183]
	v_add_f64 v[6:7], v[6:7], v[10:11]
	v_add_f64 v[250:251], v[4:5], v[242:243]
	;; [unrolled: 1-line block ×3, first 2 shown]
	v_fmac_f64_e32 v[232:233], v[252:253], v[180:181]
	v_fmac_f64_e32 v[2:3], s[12:13], v[6:7]
	;; [unrolled: 1-line block ×3, first 2 shown]
	v_fma_f64 v[4:5], -0.5, v[4:5], v[200:201]
	v_add_f64 v[6:7], v[228:229], -v[234:235]
	v_fma_f64 v[8:9], s[8:9], v[6:7], v[4:5]
	v_add_f64 v[10:11], v[230:231], -v[232:233]
	v_add_f64 v[12:13], v[236:237], -v[238:239]
	;; [unrolled: 1-line block ×3, first 2 shown]
	v_fmac_f64_e32 v[4:5], s[16:17], v[6:7]
	v_fmac_f64_e32 v[8:9], s[10:11], v[10:11]
	v_add_f64 v[12:13], v[12:13], v[14:15]
	v_fmac_f64_e32 v[4:5], s[14:15], v[10:11]
	v_fmac_f64_e32 v[8:9], s[12:13], v[12:13]
	v_fmac_f64_e32 v[4:5], s[12:13], v[12:13]
	v_add_f64 v[12:13], v[236:237], v[242:243]
	v_fmac_f64_e32 v[200:201], -0.5, v[12:13]
	v_fma_f64 v[12:13], s[16:17], v[10:11], v[200:201]
	v_fmac_f64_e32 v[200:201], s[8:9], v[10:11]
	v_fmac_f64_e32 v[12:13], s[10:11], v[6:7]
	v_fmac_f64_e32 v[200:201], s[14:15], v[6:7]
	v_add_f64 v[6:7], v[202:203], v[228:229]
	v_add_f64 v[6:7], v[6:7], v[230:231]
	;; [unrolled: 1-line block ×3, first 2 shown]
	v_add_f64 v[14:15], v[238:239], -v[236:237]
	v_add_f64 v[16:17], v[240:241], -v[242:243]
	v_add_f64 v[252:253], v[6:7], v[234:235]
	v_add_f64 v[6:7], v[230:231], v[232:233]
	;; [unrolled: 1-line block ×3, first 2 shown]
	v_fma_f64 v[6:7], -0.5, v[6:7], v[202:203]
	v_add_f64 v[16:17], v[236:237], -v[242:243]
	v_fmac_f64_e32 v[12:13], s[12:13], v[14:15]
	v_fmac_f64_e32 v[200:201], s[12:13], v[14:15]
	v_fma_f64 v[10:11], s[16:17], v[16:17], v[6:7]
	v_add_f64 v[18:19], v[238:239], -v[240:241]
	v_add_f64 v[14:15], v[228:229], -v[230:231]
	;; [unrolled: 1-line block ×3, first 2 shown]
	v_fmac_f64_e32 v[6:7], s[8:9], v[16:17]
	v_fmac_f64_e32 v[10:11], s[14:15], v[18:19]
	v_add_f64 v[14:15], v[14:15], v[236:237]
	v_fmac_f64_e32 v[6:7], s[10:11], v[18:19]
	v_fmac_f64_e32 v[10:11], s[12:13], v[14:15]
	;; [unrolled: 1-line block ×3, first 2 shown]
	v_add_f64 v[14:15], v[228:229], v[234:235]
	v_fmac_f64_e32 v[202:203], -0.5, v[14:15]
	v_fma_f64 v[14:15], s[8:9], v[18:19], v[202:203]
	v_add_f64 v[228:229], v[230:231], -v[228:229]
	v_add_f64 v[230:231], v[232:233], -v[234:235]
	v_fmac_f64_e32 v[202:203], s[16:17], v[18:19]
	v_fmac_f64_e32 v[14:15], s[14:15], v[16:17]
	v_add_f64 v[228:229], v[228:229], v[230:231]
	v_fmac_f64_e32 v[202:203], s[10:11], v[16:17]
	v_fmac_f64_e32 v[14:15], s[12:13], v[228:229]
	;; [unrolled: 1-line block ×3, first 2 shown]
	ds_write_b128 v220, v[216:219]
	ds_write_b128 v220, v[212:215] offset:5600
	ds_write_b128 v220, v[0:3] offset:11200
	;; [unrolled: 1-line block ×9, first 2 shown]
	v_add_co_u32_e64 v0, s[0:1], s0, v226
	s_waitcnt lgkmcnt(0)
	s_nop 0
	v_addc_co_u32_e64 v1, s[0:1], 0, v227, s[0:1]
	s_mov_b32 s0, 0xa000
	s_barrier
	global_load_dwordx4 v[200:203], v[0:1], off offset:3424
	v_add_co_u32_e64 v0, s[0:1], s0, v226
	s_nop 1
	v_addc_co_u32_e64 v1, s[0:1], 0, v227, s[0:1]
	global_load_dwordx4 v[204:207], v[0:1], off offset:1040
	s_mov_b64 s[0:1], 0x6d60
	v_lshl_add_u64 v[2:3], v[226:227], 0, s[0:1]
	global_load_dwordx4 v[208:211], v[2:3], off offset:2800
	s_nop 0
	global_load_dwordx4 v[0:3], v[0:1], off offset:3840
	s_mov_b32 s0, 0x8000
	v_add_co_u32_e64 v12, s[0:1], s0, v226
	s_nop 1
	v_addc_co_u32_e64 v13, s[0:1], 0, v227, s[0:1]
	s_mov_b32 s0, 0xb000
	global_load_dwordx4 v[4:7], v[12:13], off offset:832
	v_add_co_u32_e64 v8, s[0:1], s0, v226
	s_nop 1
	v_addc_co_u32_e64 v9, s[0:1], 0, v227, s[0:1]
	global_load_dwordx4 v[8:11], v[8:9], off offset:2544
	s_nop 0
	global_load_dwordx4 v[12:15], v[12:13], off offset:3632
	s_mov_b32 s0, 0xc000
	v_add_co_u32_e64 v16, s[0:1], s0, v226
	s_nop 1
	v_addc_co_u32_e64 v17, s[0:1], 0, v227, s[0:1]
	global_load_dwordx4 v[212:215], v[16:17], off offset:1248
	s_mov_b32 s0, 0x9000
	v_add_co_u32_e64 v18, s[0:1], s0, v226
	s_nop 1
	v_addc_co_u32_e64 v19, s[0:1], 0, v227, s[0:1]
	global_load_dwordx4 v[216:219], v[18:19], off offset:2336
	global_load_dwordx4 v[226:229], v[16:17], off offset:4048
	ds_read_b128 v[230:233], v220
	ds_read_b128 v[234:237], v220 offset:2800
	ds_read_b128 v[250:253], v220 offset:14000
	s_waitcnt vmcnt(9) lgkmcnt(2)
	v_mul_f64 v[16:17], v[232:233], v[202:203]
	v_mul_f64 v[240:241], v[230:231], v[202:203]
	v_fma_f64 v[238:239], v[230:231], v[200:201], -v[16:17]
	v_fmac_f64_e32 v[240:241], v[232:233], v[200:201]
	ds_read_b128 v[200:203], v220 offset:11200
	ds_write_b128 v220, v[238:241]
	s_waitcnt vmcnt(8) lgkmcnt(2)
	v_mul_f64 v[16:17], v[252:253], v[206:207]
	v_mul_f64 v[232:233], v[250:251], v[206:207]
	v_fma_f64 v[230:231], v[250:251], v[204:205], -v[16:17]
	v_fmac_f64_e32 v[232:233], v[252:253], v[204:205]
	ds_write_b128 v220, v[230:233] offset:14000
	ds_read_b128 v[230:233], v220 offset:16800
	s_waitcnt vmcnt(7)
	v_mul_f64 v[16:17], v[236:237], v[210:211]
	v_mul_f64 v[206:207], v[234:235], v[210:211]
	v_fma_f64 v[204:205], v[234:235], v[208:209], -v[16:17]
	v_fmac_f64_e32 v[206:207], v[236:237], v[208:209]
	ds_read_b128 v[234:237], v220 offset:5600
	ds_write_b128 v220, v[204:207] offset:2800
	ds_read_b128 v[204:207], v220 offset:19600
	s_waitcnt vmcnt(6) lgkmcnt(3)
	v_mul_f64 v[16:17], v[232:233], v[2:3]
	v_mul_f64 v[210:211], v[230:231], v[2:3]
	v_fma_f64 v[208:209], v[230:231], v[0:1], -v[16:17]
	v_fmac_f64_e32 v[210:211], v[232:233], v[0:1]
	ds_read_b128 v[0:3], v220 offset:8400
	ds_write_b128 v220, v[208:211] offset:16800
	s_waitcnt vmcnt(5) lgkmcnt(4)
	v_mul_f64 v[16:17], v[236:237], v[6:7]
	v_mul_f64 v[210:211], v[234:235], v[6:7]
	v_fma_f64 v[208:209], v[234:235], v[4:5], -v[16:17]
	v_fmac_f64_e32 v[210:211], v[236:237], v[4:5]
	s_waitcnt vmcnt(4) lgkmcnt(2)
	v_mul_f64 v[4:5], v[206:207], v[10:11]
	v_mul_f64 v[6:7], v[204:205], v[10:11]
	v_fma_f64 v[4:5], v[204:205], v[8:9], -v[4:5]
	v_fmac_f64_e32 v[6:7], v[206:207], v[8:9]
	ds_read_b128 v[8:11], v220 offset:22400
	ds_write_b128 v220, v[4:7] offset:19600
	s_waitcnt vmcnt(3) lgkmcnt(3)
	v_mul_f64 v[4:5], v[2:3], v[14:15]
	v_mul_f64 v[6:7], v[0:1], v[14:15]
	v_fma_f64 v[4:5], v[0:1], v[12:13], -v[4:5]
	v_fmac_f64_e32 v[6:7], v[2:3], v[12:13]
	ds_read_b128 v[0:3], v220 offset:25200
	ds_write_b128 v220, v[4:7] offset:8400
	s_waitcnt vmcnt(2) lgkmcnt(3)
	v_mul_f64 v[4:5], v[10:11], v[214:215]
	v_mul_f64 v[6:7], v[8:9], v[214:215]
	v_fma_f64 v[4:5], v[8:9], v[212:213], -v[4:5]
	v_fmac_f64_e32 v[6:7], v[10:11], v[212:213]
	ds_write_b128 v220, v[4:7] offset:22400
	s_waitcnt vmcnt(1)
	v_mul_f64 v[4:5], v[202:203], v[218:219]
	v_mul_f64 v[6:7], v[200:201], v[218:219]
	v_fma_f64 v[4:5], v[200:201], v[216:217], -v[4:5]
	v_fmac_f64_e32 v[6:7], v[202:203], v[216:217]
	ds_write_b128 v220, v[4:7] offset:11200
	s_waitcnt vmcnt(0) lgkmcnt(3)
	v_mul_f64 v[4:5], v[2:3], v[228:229]
	v_mul_f64 v[6:7], v[0:1], v[228:229]
	v_fma_f64 v[4:5], v[0:1], v[226:227], -v[4:5]
	v_fmac_f64_e32 v[6:7], v[2:3], v[226:227]
	ds_write_b128 v220, v[208:211] offset:5600
	ds_write_b128 v220, v[4:7] offset:25200
	s_waitcnt lgkmcnt(0)
	s_barrier
	ds_read_b128 v[0:3], v220 offset:14000
	ds_read_b128 v[4:7], v220
	ds_read_b128 v[8:11], v220 offset:2800
	ds_read_b128 v[12:15], v220 offset:16800
	;; [unrolled: 1-line block ×8, first 2 shown]
	s_waitcnt lgkmcnt(8)
	v_add_f64 v[0:1], v[4:5], -v[0:1]
	v_add_f64 v[2:3], v[6:7], -v[2:3]
	v_fma_f64 v[4:5], v[4:5], 2.0, -v[0:1]
	v_fma_f64 v[6:7], v[6:7], 2.0, -v[2:3]
	s_waitcnt lgkmcnt(6)
	v_add_f64 v[12:13], v[8:9], -v[12:13]
	v_add_f64 v[14:15], v[10:11], -v[14:15]
	s_waitcnt lgkmcnt(4)
	v_add_f64 v[200:201], v[204:205], -v[200:201]
	v_add_f64 v[202:203], v[206:207], -v[202:203]
	;; [unrolled: 3-line block ×4, first 2 shown]
	v_fma_f64 v[8:9], v[8:9], 2.0, -v[12:13]
	v_fma_f64 v[10:11], v[10:11], 2.0, -v[14:15]
	;; [unrolled: 1-line block ×8, first 2 shown]
	s_barrier
	ds_write_b128 v221, v[4:7]
	ds_write_b128 v221, v[0:3] offset:16
	ds_write_b128 v225, v[8:11]
	ds_write_b128 v225, v[12:15] offset:16
	;; [unrolled: 2-line block ×3, first 2 shown]
	v_accvgpr_read_b32 v0, a22
	ds_write_b128 v0, v[208:211]
	ds_write_b128 v0, v[216:219] offset:16
	ds_write_b128 v246, v[212:215]
	ds_write_b128 v246, v[226:229] offset:16
	s_waitcnt lgkmcnt(0)
	s_barrier
	ds_read_b128 v[200:203], v220
	ds_read_b128 v[204:207], v220 offset:2800
	ds_read_b128 v[0:3], v220 offset:5600
	;; [unrolled: 1-line block ×9, first 2 shown]
	s_waitcnt lgkmcnt(7)
	v_mul_f64 v[16:17], v[54:55], v[2:3]
	v_fmac_f64_e32 v[16:17], v[52:53], v[0:1]
	v_mul_f64 v[0:1], v[54:55], v[0:1]
	v_fma_f64 v[18:19], v[52:53], v[2:3], -v[0:1]
	s_waitcnt lgkmcnt(5)
	v_mul_f64 v[52:53], v[50:51], v[10:11]
	v_mul_f64 v[0:1], v[50:51], v[8:9]
	v_fmac_f64_e32 v[52:53], v[48:49], v[8:9]
	v_fma_f64 v[48:49], v[48:49], v[10:11], -v[0:1]
	s_waitcnt lgkmcnt(3)
	v_mul_f64 v[50:51], v[46:47], v[210:211]
	v_mul_f64 v[0:1], v[46:47], v[208:209]
	v_fmac_f64_e32 v[50:51], v[44:45], v[208:209]
	;; [unrolled: 5-line block ×3, first 2 shown]
	v_fma_f64 v[40:41], v[40:41], v[218:219], -v[0:1]
	v_mul_f64 v[54:55], v[70:71], v[6:7]
	v_mul_f64 v[0:1], v[70:71], v[4:5]
	v_add_f64 v[2:3], v[52:53], v[50:51]
	v_fmac_f64_e32 v[54:55], v[68:69], v[4:5]
	v_fma_f64 v[68:69], v[68:69], v[6:7], -v[0:1]
	v_mul_f64 v[70:71], v[66:67], v[14:15]
	v_mul_f64 v[0:1], v[66:67], v[12:13]
	v_fma_f64 v[4:5], -0.5, v[2:3], v[200:201]
	v_add_f64 v[2:3], v[18:19], -v[40:41]
	v_fmac_f64_e32 v[70:71], v[64:65], v[12:13]
	v_fma_f64 v[64:65], v[64:65], v[14:15], -v[0:1]
	v_fma_f64 v[8:9], s[16:17], v[2:3], v[4:5]
	v_add_f64 v[6:7], v[48:49], -v[44:45]
	v_add_f64 v[12:13], v[16:17], -v[52:53]
	;; [unrolled: 1-line block ×3, first 2 shown]
	v_fmac_f64_e32 v[4:5], s[8:9], v[2:3]
	v_mul_f64 v[66:67], v[62:63], v[214:215]
	v_mul_f64 v[0:1], v[62:63], v[212:213]
	v_fmac_f64_e32 v[8:9], s[14:15], v[6:7]
	v_add_f64 v[12:13], v[12:13], v[14:15]
	v_fmac_f64_e32 v[4:5], s[10:11], v[6:7]
	v_fmac_f64_e32 v[66:67], v[60:61], v[212:213]
	v_fma_f64 v[60:61], v[60:61], v[214:215], -v[0:1]
	s_waitcnt lgkmcnt(0)
	v_mul_f64 v[62:63], v[58:59], v[228:229]
	v_mul_f64 v[0:1], v[58:59], v[226:227]
	v_fmac_f64_e32 v[8:9], s[12:13], v[12:13]
	v_fmac_f64_e32 v[4:5], s[12:13], v[12:13]
	v_add_f64 v[12:13], v[16:17], v[10:11]
	v_fmac_f64_e32 v[62:63], v[56:57], v[226:227]
	v_fma_f64 v[56:57], v[56:57], v[228:229], -v[0:1]
	v_add_f64 v[0:1], v[200:201], v[16:17]
	v_fmac_f64_e32 v[200:201], -0.5, v[12:13]
	v_add_f64 v[0:1], v[0:1], v[52:53]
	v_fma_f64 v[12:13], s[8:9], v[6:7], v[200:201]
	v_add_f64 v[14:15], v[52:53], -v[16:17]
	v_add_f64 v[42:43], v[50:51], -v[10:11]
	v_fmac_f64_e32 v[200:201], s[16:17], v[6:7]
	v_add_f64 v[6:7], v[48:49], v[44:45]
	v_add_f64 v[0:1], v[0:1], v[50:51]
	v_fmac_f64_e32 v[12:13], s[14:15], v[2:3]
	v_add_f64 v[14:15], v[14:15], v[42:43]
	v_fmac_f64_e32 v[200:201], s[10:11], v[2:3]
	v_fma_f64 v[6:7], -0.5, v[6:7], v[202:203]
	v_add_f64 v[16:17], v[16:17], -v[10:11]
	v_add_f64 v[0:1], v[0:1], v[10:11]
	v_fmac_f64_e32 v[12:13], s[12:13], v[14:15]
	v_fmac_f64_e32 v[200:201], s[12:13], v[14:15]
	v_fma_f64 v[10:11], s[8:9], v[16:17], v[6:7]
	v_add_f64 v[42:43], v[52:53], -v[50:51]
	v_add_f64 v[14:15], v[18:19], -v[48:49]
	;; [unrolled: 1-line block ×3, first 2 shown]
	v_fmac_f64_e32 v[6:7], s[16:17], v[16:17]
	v_fmac_f64_e32 v[10:11], s[10:11], v[42:43]
	v_add_f64 v[14:15], v[14:15], v[46:47]
	v_fmac_f64_e32 v[6:7], s[14:15], v[42:43]
	v_fmac_f64_e32 v[10:11], s[12:13], v[14:15]
	;; [unrolled: 1-line block ×3, first 2 shown]
	v_add_f64 v[14:15], v[18:19], v[40:41]
	v_add_f64 v[2:3], v[202:203], v[18:19]
	v_fmac_f64_e32 v[202:203], -0.5, v[14:15]
	v_fma_f64 v[14:15], s[16:17], v[42:43], v[202:203]
	v_fmac_f64_e32 v[202:203], s[8:9], v[42:43]
	v_add_f64 v[2:3], v[2:3], v[48:49]
	v_fmac_f64_e32 v[14:15], s[10:11], v[16:17]
	v_fmac_f64_e32 v[202:203], s[14:15], v[16:17]
	v_add_f64 v[16:17], v[204:205], v[54:55]
	v_add_f64 v[2:3], v[2:3], v[44:45]
	;; [unrolled: 1-line block ×4, first 2 shown]
	v_add_f64 v[18:19], v[48:49], -v[18:19]
	v_add_f64 v[40:41], v[44:45], -v[40:41]
	v_add_f64 v[16:17], v[16:17], v[66:67]
	v_add_f64 v[18:19], v[18:19], v[40:41]
	v_add_f64 v[40:41], v[16:17], v[62:63]
	v_add_f64 v[16:17], v[70:71], v[66:67]
	v_fma_f64 v[44:45], -0.5, v[16:17], v[204:205]
	v_add_f64 v[16:17], v[68:69], -v[56:57]
	v_fmac_f64_e32 v[14:15], s[12:13], v[18:19]
	v_fmac_f64_e32 v[202:203], s[12:13], v[18:19]
	v_fma_f64 v[48:49], s[16:17], v[16:17], v[44:45]
	v_add_f64 v[18:19], v[64:65], -v[60:61]
	v_add_f64 v[42:43], v[54:55], -v[70:71]
	;; [unrolled: 1-line block ×3, first 2 shown]
	v_fmac_f64_e32 v[44:45], s[8:9], v[16:17]
	v_fmac_f64_e32 v[48:49], s[14:15], v[18:19]
	v_add_f64 v[42:43], v[42:43], v[46:47]
	v_fmac_f64_e32 v[44:45], s[10:11], v[18:19]
	v_fmac_f64_e32 v[48:49], s[12:13], v[42:43]
	;; [unrolled: 1-line block ×3, first 2 shown]
	v_add_f64 v[42:43], v[54:55], v[62:63]
	v_fmac_f64_e32 v[204:205], -0.5, v[42:43]
	v_fma_f64 v[52:53], s[8:9], v[18:19], v[204:205]
	v_fmac_f64_e32 v[204:205], s[16:17], v[18:19]
	v_fmac_f64_e32 v[52:53], s[14:15], v[16:17]
	;; [unrolled: 1-line block ×3, first 2 shown]
	v_add_f64 v[16:17], v[206:207], v[68:69]
	v_add_f64 v[42:43], v[70:71], -v[54:55]
	v_add_f64 v[46:47], v[66:67], -v[62:63]
	v_add_f64 v[16:17], v[16:17], v[64:65]
	v_add_f64 v[42:43], v[42:43], v[46:47]
	;; [unrolled: 1-line block ×3, first 2 shown]
	v_fmac_f64_e32 v[52:53], s[12:13], v[42:43]
	v_fmac_f64_e32 v[204:205], s[12:13], v[42:43]
	v_add_f64 v[42:43], v[16:17], v[56:57]
	v_add_f64 v[16:17], v[64:65], v[60:61]
	v_fma_f64 v[46:47], -0.5, v[16:17], v[206:207]
	v_add_f64 v[16:17], v[54:55], -v[62:63]
	v_fma_f64 v[50:51], s[8:9], v[16:17], v[46:47]
	v_add_f64 v[18:19], v[70:71], -v[66:67]
	v_add_f64 v[54:55], v[68:69], -v[64:65]
	;; [unrolled: 1-line block ×3, first 2 shown]
	v_fmac_f64_e32 v[46:47], s[16:17], v[16:17]
	v_fmac_f64_e32 v[50:51], s[10:11], v[18:19]
	v_add_f64 v[54:55], v[54:55], v[58:59]
	v_fmac_f64_e32 v[46:47], s[14:15], v[18:19]
	v_fmac_f64_e32 v[50:51], s[12:13], v[54:55]
	;; [unrolled: 1-line block ×3, first 2 shown]
	v_add_f64 v[54:55], v[68:69], v[56:57]
	v_fmac_f64_e32 v[206:207], -0.5, v[54:55]
	v_fma_f64 v[54:55], s[16:17], v[18:19], v[206:207]
	v_add_f64 v[58:59], v[64:65], -v[68:69]
	v_add_f64 v[56:57], v[60:61], -v[56:57]
	v_fmac_f64_e32 v[54:55], s[10:11], v[16:17]
	v_add_f64 v[56:57], v[58:59], v[56:57]
	v_fmac_f64_e32 v[206:207], s[8:9], v[18:19]
	v_fmac_f64_e32 v[54:55], s[12:13], v[56:57]
	;; [unrolled: 1-line block ×4, first 2 shown]
	s_barrier
	ds_write_b128 v244, v[0:3]
	ds_write_b128 v244, v[8:11] offset:32
	ds_write_b128 v244, v[12:15] offset:64
	;; [unrolled: 1-line block ×4, first 2 shown]
	ds_write_b128 v245, v[40:43]
	ds_write_b128 v245, v[48:51] offset:32
	ds_write_b128 v245, v[52:55] offset:64
	;; [unrolled: 1-line block ×4, first 2 shown]
	s_waitcnt lgkmcnt(0)
	s_barrier
	ds_read_b128 v[52:55], v220
	ds_read_b128 v[40:43], v220 offset:2800
	ds_read_b128 v[0:3], v220 offset:5600
	ds_read_b128 v[4:7], v220 offset:8400
	ds_read_b128 v[8:11], v220 offset:11200
	ds_read_b128 v[12:15], v220 offset:14000
	ds_read_b128 v[44:47], v220 offset:16800
	ds_read_b128 v[48:51], v220 offset:19600
	ds_read_b128 v[56:59], v220 offset:22400
	ds_read_b128 v[60:63], v220 offset:25200
	s_waitcnt lgkmcnt(7)
	v_mul_f64 v[16:17], v[82:83], v[2:3]
	v_fmac_f64_e32 v[16:17], v[80:81], v[0:1]
	v_mul_f64 v[0:1], v[82:83], v[0:1]
	v_fma_f64 v[18:19], v[80:81], v[2:3], -v[0:1]
	s_waitcnt lgkmcnt(5)
	v_mul_f64 v[0:1], v[78:79], v[8:9]
	v_mul_f64 v[64:65], v[78:79], v[10:11]
	v_fma_f64 v[66:67], v[76:77], v[10:11], -v[0:1]
	s_waitcnt lgkmcnt(3)
	v_mul_f64 v[68:69], v[74:75], v[46:47]
	v_mul_f64 v[0:1], v[74:75], v[44:45]
	v_fmac_f64_e32 v[64:65], v[76:77], v[8:9]
	v_fmac_f64_e32 v[68:69], v[72:73], v[44:45]
	v_fma_f64 v[44:45], v[72:73], v[46:47], -v[0:1]
	s_waitcnt lgkmcnt(1)
	v_mul_f64 v[0:1], v[86:87], v[56:57]
	v_mul_f64 v[10:11], v[86:87], v[58:59]
	v_fma_f64 v[46:47], v[84:85], v[58:59], -v[0:1]
	v_mul_f64 v[70:71], v[90:91], v[6:7]
	v_mul_f64 v[0:1], v[90:91], v[4:5]
	v_add_f64 v[2:3], v[64:65], v[68:69]
	v_fmac_f64_e32 v[10:11], v[84:85], v[56:57]
	v_fmac_f64_e32 v[70:71], v[88:89], v[4:5]
	v_fma_f64 v[72:73], v[88:89], v[6:7], -v[0:1]
	v_mul_f64 v[74:75], v[94:95], v[14:15]
	v_mul_f64 v[0:1], v[94:95], v[12:13]
	v_fma_f64 v[4:5], -0.5, v[2:3], v[52:53]
	v_add_f64 v[2:3], v[18:19], -v[46:47]
	v_fmac_f64_e32 v[74:75], v[92:93], v[12:13]
	v_fma_f64 v[76:77], v[92:93], v[14:15], -v[0:1]
	v_fma_f64 v[8:9], s[16:17], v[2:3], v[4:5]
	v_add_f64 v[6:7], v[66:67], -v[44:45]
	v_add_f64 v[12:13], v[16:17], -v[64:65]
	v_add_f64 v[14:15], v[10:11], -v[68:69]
	v_fmac_f64_e32 v[4:5], s[8:9], v[2:3]
	v_mul_f64 v[0:1], v[98:99], v[48:49]
	v_fmac_f64_e32 v[8:9], s[14:15], v[6:7]
	v_add_f64 v[12:13], v[12:13], v[14:15]
	v_fmac_f64_e32 v[4:5], s[10:11], v[6:7]
	v_fma_f64 v[80:81], v[96:97], v[50:51], -v[0:1]
	s_waitcnt lgkmcnt(0)
	v_mul_f64 v[0:1], v[102:103], v[60:61]
	v_fmac_f64_e32 v[8:9], s[12:13], v[12:13]
	v_fmac_f64_e32 v[4:5], s[12:13], v[12:13]
	v_add_f64 v[12:13], v[16:17], v[10:11]
	v_mul_f64 v[78:79], v[98:99], v[50:51]
	v_fma_f64 v[84:85], v[100:101], v[62:63], -v[0:1]
	v_add_f64 v[0:1], v[52:53], v[16:17]
	v_fmac_f64_e32 v[52:53], -0.5, v[12:13]
	v_fmac_f64_e32 v[78:79], v[96:97], v[48:49]
	v_add_f64 v[0:1], v[0:1], v[64:65]
	v_fma_f64 v[12:13], s[8:9], v[6:7], v[52:53]
	v_add_f64 v[14:15], v[64:65], -v[16:17]
	v_add_f64 v[48:49], v[68:69], -v[10:11]
	v_fmac_f64_e32 v[52:53], s[16:17], v[6:7]
	v_add_f64 v[6:7], v[66:67], v[44:45]
	v_add_f64 v[0:1], v[0:1], v[68:69]
	v_fmac_f64_e32 v[12:13], s[14:15], v[2:3]
	v_add_f64 v[14:15], v[14:15], v[48:49]
	v_fmac_f64_e32 v[52:53], s[10:11], v[2:3]
	v_fma_f64 v[6:7], -0.5, v[6:7], v[54:55]
	v_add_f64 v[16:17], v[16:17], -v[10:11]
	v_add_f64 v[0:1], v[0:1], v[10:11]
	v_fmac_f64_e32 v[12:13], s[12:13], v[14:15]
	v_fmac_f64_e32 v[52:53], s[12:13], v[14:15]
	v_fma_f64 v[10:11], s[8:9], v[16:17], v[6:7]
	v_add_f64 v[48:49], v[64:65], -v[68:69]
	v_add_f64 v[14:15], v[18:19], -v[66:67]
	;; [unrolled: 1-line block ×3, first 2 shown]
	v_fmac_f64_e32 v[6:7], s[16:17], v[16:17]
	v_fmac_f64_e32 v[10:11], s[10:11], v[48:49]
	v_add_f64 v[14:15], v[14:15], v[50:51]
	v_fmac_f64_e32 v[6:7], s[14:15], v[48:49]
	v_fmac_f64_e32 v[10:11], s[12:13], v[14:15]
	;; [unrolled: 1-line block ×3, first 2 shown]
	v_add_f64 v[14:15], v[18:19], v[46:47]
	v_add_f64 v[2:3], v[54:55], v[18:19]
	v_fmac_f64_e32 v[54:55], -0.5, v[14:15]
	v_fma_f64 v[14:15], s[16:17], v[48:49], v[54:55]
	v_fmac_f64_e32 v[54:55], s[8:9], v[48:49]
	v_fmac_f64_e32 v[14:15], s[10:11], v[16:17]
	;; [unrolled: 1-line block ×3, first 2 shown]
	v_add_f64 v[16:17], v[40:41], v[70:71]
	v_mul_f64 v[82:83], v[102:103], v[62:63]
	v_add_f64 v[16:17], v[16:17], v[74:75]
	v_fmac_f64_e32 v[82:83], v[100:101], v[60:61]
	v_add_f64 v[2:3], v[2:3], v[66:67]
	v_add_f64 v[16:17], v[16:17], v[78:79]
	;; [unrolled: 1-line block ×3, first 2 shown]
	v_add_f64 v[18:19], v[66:67], -v[18:19]
	v_add_f64 v[44:45], v[44:45], -v[46:47]
	v_add_f64 v[56:57], v[16:17], v[82:83]
	v_add_f64 v[16:17], v[74:75], v[78:79]
	;; [unrolled: 1-line block ×3, first 2 shown]
	v_fma_f64 v[48:49], -0.5, v[16:17], v[40:41]
	v_add_f64 v[16:17], v[72:73], -v[84:85]
	v_add_f64 v[2:3], v[2:3], v[46:47]
	v_fmac_f64_e32 v[14:15], s[12:13], v[18:19]
	v_fmac_f64_e32 v[54:55], s[12:13], v[18:19]
	v_fma_f64 v[60:61], s[16:17], v[16:17], v[48:49]
	v_add_f64 v[18:19], v[76:77], -v[80:81]
	v_add_f64 v[44:45], v[70:71], -v[74:75]
	;; [unrolled: 1-line block ×3, first 2 shown]
	v_fmac_f64_e32 v[48:49], s[8:9], v[16:17]
	v_fmac_f64_e32 v[60:61], s[14:15], v[18:19]
	v_add_f64 v[44:45], v[44:45], v[46:47]
	v_fmac_f64_e32 v[48:49], s[10:11], v[18:19]
	v_fmac_f64_e32 v[60:61], s[12:13], v[44:45]
	;; [unrolled: 1-line block ×3, first 2 shown]
	v_add_f64 v[44:45], v[70:71], v[82:83]
	v_fmac_f64_e32 v[40:41], -0.5, v[44:45]
	v_fma_f64 v[44:45], s[8:9], v[18:19], v[40:41]
	v_fmac_f64_e32 v[40:41], s[16:17], v[18:19]
	v_fmac_f64_e32 v[44:45], s[14:15], v[16:17]
	;; [unrolled: 1-line block ×3, first 2 shown]
	v_add_f64 v[16:17], v[42:43], v[72:73]
	v_add_f64 v[16:17], v[16:17], v[76:77]
	;; [unrolled: 1-line block ×3, first 2 shown]
	v_add_f64 v[46:47], v[74:75], -v[70:71]
	v_add_f64 v[50:51], v[78:79], -v[82:83]
	v_add_f64 v[58:59], v[16:17], v[84:85]
	v_add_f64 v[16:17], v[76:77], v[80:81]
	;; [unrolled: 1-line block ×3, first 2 shown]
	v_fma_f64 v[50:51], -0.5, v[16:17], v[42:43]
	v_add_f64 v[16:17], v[70:71], -v[82:83]
	v_fmac_f64_e32 v[44:45], s[12:13], v[46:47]
	v_fmac_f64_e32 v[40:41], s[12:13], v[46:47]
	v_fma_f64 v[62:63], s[8:9], v[16:17], v[50:51]
	v_add_f64 v[18:19], v[74:75], -v[78:79]
	v_add_f64 v[46:47], v[72:73], -v[76:77]
	;; [unrolled: 1-line block ×3, first 2 shown]
	v_fmac_f64_e32 v[50:51], s[16:17], v[16:17]
	v_fmac_f64_e32 v[62:63], s[10:11], v[18:19]
	v_add_f64 v[46:47], v[46:47], v[64:65]
	v_fmac_f64_e32 v[50:51], s[14:15], v[18:19]
	v_fmac_f64_e32 v[62:63], s[12:13], v[46:47]
	;; [unrolled: 1-line block ×3, first 2 shown]
	v_add_f64 v[46:47], v[72:73], v[84:85]
	v_fmac_f64_e32 v[42:43], -0.5, v[46:47]
	v_fma_f64 v[46:47], s[16:17], v[18:19], v[42:43]
	v_add_f64 v[64:65], v[76:77], -v[72:73]
	v_add_f64 v[66:67], v[80:81], -v[84:85]
	v_fmac_f64_e32 v[42:43], s[8:9], v[18:19]
	v_fmac_f64_e32 v[46:47], s[10:11], v[16:17]
	v_add_f64 v[64:65], v[64:65], v[66:67]
	v_fmac_f64_e32 v[42:43], s[14:15], v[16:17]
	v_fmac_f64_e32 v[46:47], s[12:13], v[64:65]
	;; [unrolled: 1-line block ×3, first 2 shown]
	s_barrier
	ds_write_b128 v247, v[0:3]
	ds_write_b128 v247, v[8:11] offset:160
	ds_write_b128 v247, v[12:15] offset:320
	;; [unrolled: 1-line block ×4, first 2 shown]
	ds_write_b128 v248, v[56:59]
	ds_write_b128 v248, v[60:63] offset:160
	ds_write_b128 v248, v[44:47] offset:320
	ds_write_b128 v248, v[40:43] offset:480
	ds_write_b128 v248, v[48:51] offset:640
	s_waitcnt lgkmcnt(0)
	s_barrier
	ds_read_b128 v[52:55], v220
	ds_read_b128 v[76:79], v220 offset:4000
	ds_read_b128 v[72:75], v220 offset:8000
	;; [unrolled: 1-line block ×6, first 2 shown]
	s_and_saveexec_b64 s[0:1], vcc
	s_cbranch_execz .LBB0_7
; %bb.6:
	ds_read_b128 v[44:47], v220 offset:2800
	ds_read_b128 v[40:43], v220 offset:6800
	ds_read_b128 v[48:51], v220 offset:10800
	ds_read_b128 v[172:175], v220 offset:14800
	ds_read_b128 v[184:187], v220 offset:18800
	ds_read_b128 v[192:195], v220 offset:22800
	ds_read_b128 v[196:199], v220 offset:26800
.LBB0_7:
	s_or_b64 exec, exec, s[0:1]
	s_waitcnt lgkmcnt(1)
	v_mul_f64 v[16:17], v[150:151], v[62:63]
	v_fmac_f64_e32 v[16:17], v[148:149], v[60:61]
	v_mul_f64 v[18:19], v[150:151], v[60:61]
	s_waitcnt lgkmcnt(0)
	v_mul_f64 v[60:61], v[146:147], v[58:59]
	v_mul_f64 v[0:1], v[138:139], v[78:79]
	;; [unrolled: 1-line block ×4, first 2 shown]
	v_fmac_f64_e32 v[60:61], v[144:145], v[56:57]
	v_mul_f64 v[56:57], v[146:147], v[56:57]
	v_fmac_f64_e32 v[0:1], v[136:137], v[76:77]
	v_fma_f64 v[2:3], v[136:137], v[78:79], -v[2:3]
	v_fmac_f64_e32 v[4:5], v[132:133], v[72:73]
	v_mul_f64 v[6:7], v[134:135], v[72:73]
	v_mul_f64 v[8:9], v[130:131], v[70:71]
	v_mul_f64 v[12:13], v[126:127], v[66:67]
	v_fma_f64 v[56:57], v[144:145], v[58:59], -v[56:57]
	v_fma_f64 v[6:7], v[132:133], v[74:75], -v[6:7]
	v_fmac_f64_e32 v[8:9], v[128:129], v[68:69]
	v_mul_f64 v[10:11], v[130:131], v[68:69]
	v_fmac_f64_e32 v[12:13], v[124:125], v[64:65]
	v_mul_f64 v[14:15], v[126:127], v[64:65]
	v_fma_f64 v[18:19], v[148:149], v[62:63], -v[18:19]
	v_add_f64 v[58:59], v[0:1], v[60:61]
	v_add_f64 v[62:63], v[2:3], v[56:57]
	v_add_f64 v[2:3], v[2:3], -v[56:57]
	v_add_f64 v[56:57], v[4:5], v[16:17]
	v_fma_f64 v[10:11], v[128:129], v[70:71], -v[10:11]
	v_fma_f64 v[14:15], v[124:125], v[66:67], -v[14:15]
	v_add_f64 v[0:1], v[0:1], -v[60:61]
	v_add_f64 v[60:61], v[6:7], v[18:19]
	v_add_f64 v[4:5], v[4:5], -v[16:17]
	v_add_f64 v[16:17], v[8:9], v[12:13]
	;; [unrolled: 2-line block ×5, first 2 shown]
	v_add_f64 v[68:69], v[8:9], v[4:5]
	v_add_f64 v[12:13], v[16:17], v[12:13]
	v_add_f64 v[64:65], v[56:57], -v[58:59]
	v_add_f64 v[58:59], v[58:59], -v[16:17]
	v_add_f64 v[56:57], v[16:17], -v[56:57]
	v_add_f64 v[70:71], v[10:11], v[6:7]
	v_add_f64 v[72:73], v[8:9], -v[4:5]
	v_add_f64 v[8:9], v[0:1], -v[8:9]
	;; [unrolled: 1-line block ×3, first 2 shown]
	v_add_f64 v[14:15], v[18:19], v[14:15]
	v_add_f64 v[16:17], v[68:69], v[0:1]
	;; [unrolled: 1-line block ×3, first 2 shown]
	s_mov_b32 s10, 0x37e14327
	s_mov_b32 s12, 0x36b3c0b5
	;; [unrolled: 1-line block ×5, first 2 shown]
	v_add_f64 v[66:67], v[60:61], -v[62:63]
	v_add_f64 v[62:63], v[62:63], -v[18:19]
	;; [unrolled: 1-line block ×6, first 2 shown]
	v_add_f64 v[18:19], v[70:71], v[2:3]
	v_add_f64 v[2:3], v[54:55], v[14:15]
	s_mov_b32 s11, 0x3fe948f6
	s_mov_b32 s13, 0x3fac98ee
	;; [unrolled: 1-line block ×5, first 2 shown]
	v_mov_b64_e32 v[76:77], v[0:1]
	s_mov_b32 s8, 0x5476071b
	s_mov_b32 s24, 0xb247c609
	v_mul_f64 v[52:53], v[58:59], s[10:11]
	v_mul_f64 v[54:55], v[62:63], s[10:11]
	;; [unrolled: 1-line block ×8, first 2 shown]
	v_fmac_f64_e32 v[76:77], s[22:23], v[12:13]
	v_mov_b64_e32 v[12:13], v[2:3]
	s_mov_b32 s9, 0x3fe77f67
	s_mov_b32 s17, 0xbfe77f67
	;; [unrolled: 1-line block ×7, first 2 shown]
	v_fmac_f64_e32 v[12:13], s[22:23], v[14:15]
	v_fma_f64 v[14:15], v[64:65], s[8:9], -v[58:59]
	v_fma_f64 v[58:59], v[66:67], s[8:9], -v[62:63]
	;; [unrolled: 1-line block ×3, first 2 shown]
	v_fmac_f64_e32 v[52:53], s[12:13], v[56:57]
	v_fma_f64 v[56:57], v[66:67], s[16:17], -v[54:55]
	v_fmac_f64_e32 v[54:55], s[12:13], v[60:61]
	v_fma_f64 v[60:61], v[4:5], s[0:1], -v[68:69]
	;; [unrolled: 2-line block ×4, first 2 shown]
	v_fma_f64 v[72:73], v[10:11], s[20:21], -v[74:75]
	s_mov_b32 s19, 0xbfdc38aa
	v_add_f64 v[74:75], v[52:53], v[76:77]
	v_add_f64 v[78:79], v[54:55], v[12:13]
	v_add_f64 v[52:53], v[14:15], v[76:77]
	v_add_f64 v[54:55], v[58:59], v[12:13]
	v_add_f64 v[58:59], v[62:63], v[76:77]
	v_add_f64 v[62:63], v[56:57], v[12:13]
	v_fmac_f64_e32 v[68:69], s[18:19], v[16:17]
	v_fmac_f64_e32 v[70:71], s[18:19], v[18:19]
	;; [unrolled: 1-line block ×6, first 2 shown]
	v_add_f64 v[4:5], v[70:71], v[74:75]
	v_add_f64 v[6:7], v[78:79], -v[68:69]
	v_add_f64 v[8:9], v[72:73], v[58:59]
	v_add_f64 v[10:11], v[62:63], -v[66:67]
	v_add_f64 v[12:13], v[52:53], -v[64:65]
	v_add_f64 v[14:15], v[60:61], v[54:55]
	v_add_f64 v[52:53], v[64:65], v[52:53]
	v_add_f64 v[54:55], v[54:55], -v[60:61]
	v_add_f64 v[56:57], v[58:59], -v[72:73]
	v_add_f64 v[58:59], v[66:67], v[62:63]
	v_add_f64 v[60:61], v[74:75], -v[70:71]
	v_add_f64 v[62:63], v[68:69], v[78:79]
	s_barrier
	ds_write_b128 v249, v[0:3]
	ds_write_b128 v249, v[4:7] offset:800
	ds_write_b128 v249, v[8:11] offset:1600
	;; [unrolled: 1-line block ×6, first 2 shown]
	s_and_saveexec_b64 s[26:27], vcc
	s_cbranch_execz .LBB0_9
; %bb.8:
	v_mul_f64 v[0:1], v[118:119], v[42:43]
	v_mul_f64 v[4:5], v[122:123], v[198:199]
	v_mul_f64 v[10:11], v[106:107], v[186:187]
	v_mul_f64 v[12:13], v[110:111], v[174:175]
	v_mul_f64 v[16:17], v[114:115], v[50:51]
	v_mul_f64 v[18:19], v[142:143], v[194:195]
	v_fmac_f64_e32 v[0:1], v[116:117], v[40:41]
	v_fmac_f64_e32 v[4:5], v[120:121], v[196:197]
	;; [unrolled: 1-line block ×6, first 2 shown]
	v_add_f64 v[8:9], v[0:1], -v[4:5]
	v_add_f64 v[2:3], v[10:11], -v[12:13]
	v_add_f64 v[52:53], v[16:17], -v[18:19]
	v_add_f64 v[14:15], v[8:9], -v[2:3]
	v_add_f64 v[6:7], v[2:3], -v[52:53]
	v_add_f64 v[2:3], v[2:3], v[52:53]
	v_add_f64 v[58:59], v[2:3], v[8:9]
	v_mul_f64 v[2:3], v[122:123], v[196:197]
	v_fma_f64 v[60:61], v[120:121], v[198:199], -v[2:3]
	v_mul_f64 v[2:3], v[118:119], v[40:41]
	v_fma_f64 v[40:41], v[116:117], v[42:43], -v[2:3]
	v_mul_f64 v[2:3], v[142:143], v[192:193]
	v_mul_f64 v[54:55], v[6:7], s[14:15]
	v_fma_f64 v[62:63], v[140:141], v[194:195], -v[2:3]
	v_mul_f64 v[2:3], v[114:115], v[48:49]
	v_mul_f64 v[6:7], v[110:111], v[172:173]
	v_add_f64 v[74:75], v[0:1], v[4:5]
	v_add_f64 v[16:17], v[16:17], v[18:19]
	v_fma_f64 v[48:49], v[112:113], v[50:51], -v[2:3]
	v_fma_f64 v[64:65], v[108:109], v[174:175], -v[6:7]
	v_mul_f64 v[6:7], v[106:107], v[184:185]
	v_add_f64 v[0:1], v[16:17], v[74:75]
	v_add_f64 v[4:5], v[12:13], v[10:11]
	;; [unrolled: 1-line block ×4, first 2 shown]
	v_fma_f64 v[66:67], v[104:105], v[186:187], -v[6:7]
	v_add_f64 v[10:11], v[4:5], v[0:1]
	v_add_f64 v[2:3], v[50:51], v[42:43]
	;; [unrolled: 1-line block ×5, first 2 shown]
	v_mov_b64_e32 v[12:13], v[0:1]
	v_add_f64 v[2:3], v[46:47], v[68:69]
	v_fmac_f64_e32 v[12:13], s[22:23], v[10:11]
	v_add_f64 v[10:11], v[74:75], -v[4:5]
	v_mov_b64_e32 v[46:47], v[2:3]
	v_mul_f64 v[18:19], v[10:11], s[10:11]
	v_add_f64 v[4:5], v[4:5], -v[16:17]
	v_add_f64 v[52:53], v[52:53], -v[8:9]
	v_fmac_f64_e32 v[46:47], s[22:23], v[68:69]
	v_add_f64 v[68:69], v[42:43], -v[6:7]
	v_mul_f64 v[44:45], v[4:5], s[12:13]
	v_fma_f64 v[4:5], s[12:13], v[4:5], v[18:19]
	v_mul_f64 v[8:9], v[52:53], s[0:1]
	v_fma_f64 v[56:57], s[24:25], v[14:15], v[54:55]
	v_mul_f64 v[68:69], v[68:69], s[10:11]
	v_add_f64 v[76:77], v[4:5], v[12:13]
	v_add_f64 v[40:41], v[40:41], -v[60:61]
	v_add_f64 v[4:5], v[66:67], -v[64:65]
	v_add_f64 v[48:49], v[48:49], -v[62:63]
	v_fma_f64 v[78:79], v[14:15], s[20:21], -v[8:9]
	v_add_f64 v[14:15], v[50:51], -v[42:43]
	v_add_f64 v[60:61], v[40:41], -v[4:5]
	;; [unrolled: 1-line block ×3, first 2 shown]
	v_add_f64 v[4:5], v[4:5], v[48:49]
	v_fma_f64 v[8:9], v[14:15], s[16:17], -v[68:69]
	v_add_f64 v[16:17], v[16:17], -v[74:75]
	v_add_f64 v[6:7], v[6:7], -v[50:51]
	v_mul_f64 v[62:63], v[10:11], s[14:15]
	v_add_f64 v[66:67], v[4:5], v[40:41]
	v_add_f64 v[50:51], v[8:9], v[46:47]
	v_fma_f64 v[8:9], v[16:17], s[16:17], -v[18:19]
	v_add_f64 v[40:41], v[48:49], -v[40:41]
	v_mul_f64 v[70:71], v[6:7], s[12:13]
	v_add_f64 v[18:19], v[8:9], v[12:13]
	v_mul_f64 v[8:9], v[40:41], s[0:1]
	v_fma_f64 v[16:17], v[16:17], s[8:9], -v[44:45]
	v_fma_f64 v[40:41], v[40:41], s[0:1], -v[62:63]
	v_fma_f64 v[6:7], s[12:13], v[6:7], v[68:69]
	v_fma_f64 v[14:15], v[14:15], s[8:9], -v[70:71]
	v_add_f64 v[16:17], v[16:17], v[12:13]
	v_fmac_f64_e32 v[40:41], s[18:19], v[66:67]
	v_add_f64 v[72:73], v[6:7], v[46:47]
	v_add_f64 v[42:43], v[14:15], v[46:47]
	v_fma_f64 v[46:47], v[52:53], s[0:1], -v[54:55]
	v_add_f64 v[12:13], v[40:41], v[16:17]
	v_add_f64 v[40:41], v[16:17], -v[40:41]
	s_movk_i32 s0, 0x15e
	v_accvgpr_read_b32 v16, a20
	v_accvgpr_read_b32 v17, a21
	v_fma_f64 v[64:65], s[24:25], v[60:61], v[62:63]
	v_fma_f64 v[48:49], v[60:61], s[20:21], -v[8:9]
	v_mad_legacy_u16 v16, v16, s0, v17
	v_fmac_f64_e32 v[56:57], s[18:19], v[58:59]
	v_fmac_f64_e32 v[64:65], s[18:19], v[66:67]
	;; [unrolled: 1-line block ×5, first 2 shown]
	v_lshlrev_b32_e32 v16, 4, v16
	v_add_f64 v[6:7], v[56:57], v[72:73]
	v_add_f64 v[4:5], v[76:77], -v[64:65]
	v_add_f64 v[10:11], v[78:79], v[50:51]
	v_add_f64 v[8:9], v[18:19], -v[48:49]
	v_add_f64 v[14:15], v[42:43], -v[46:47]
	v_add_f64 v[42:43], v[46:47], v[42:43]
	v_add_f64 v[46:47], v[50:51], -v[78:79]
	v_add_f64 v[44:45], v[48:49], v[18:19]
	;; [unrolled: 2-line block ×3, first 2 shown]
	ds_write_b128 v16, v[0:3]
	ds_write_b128 v16, v[48:51] offset:800
	ds_write_b128 v16, v[44:47] offset:1600
	;; [unrolled: 1-line block ×6, first 2 shown]
.LBB0_9:
	s_or_b64 exec, exec, s[26:27]
	s_waitcnt lgkmcnt(0)
	s_barrier
	ds_read_b128 v[40:43], v220
	ds_read_b128 v[44:47], v220 offset:2800
	ds_read_b128 v[0:3], v220 offset:5600
	;; [unrolled: 1-line block ×9, first 2 shown]
	s_waitcnt lgkmcnt(7)
	v_mul_f64 v[16:17], v[154:155], v[2:3]
	v_fmac_f64_e32 v[16:17], v[152:153], v[0:1]
	v_mul_f64 v[0:1], v[154:155], v[0:1]
	v_fma_f64 v[18:19], v[152:153], v[2:3], -v[0:1]
	s_waitcnt lgkmcnt(5)
	v_mul_f64 v[0:1], v[166:167], v[8:9]
	v_mul_f64 v[70:71], v[166:167], v[10:11]
	v_fma_f64 v[72:73], v[164:165], v[10:11], -v[0:1]
	s_waitcnt lgkmcnt(3)
	v_mul_f64 v[74:75], v[162:163], v[56:57]
	v_mul_f64 v[0:1], v[162:163], v[54:55]
	v_fmac_f64_e32 v[70:71], v[164:165], v[8:9]
	v_fmac_f64_e32 v[74:75], v[160:161], v[54:55]
	v_fma_f64 v[54:55], v[160:161], v[56:57], -v[0:1]
	s_waitcnt lgkmcnt(1)
	v_mul_f64 v[0:1], v[158:159], v[62:63]
	v_mov_b32_e32 v48, s2
	v_mov_b32_e32 v49, s3
	v_mad_u64_u32 v[50:51], s[0:1], s6, v224, 0
	v_mul_f64 v[10:11], v[158:159], v[64:65]
	v_fma_f64 v[56:57], v[156:157], v[64:65], -v[0:1]
	v_mul_f64 v[64:65], v[170:171], v[6:7]
	v_mul_f64 v[0:1], v[170:171], v[4:5]
	v_add_f64 v[2:3], v[70:71], v[74:75]
	s_mov_b32 s2, 0x134454ff
	v_fmac_f64_e32 v[10:11], v[156:157], v[62:63]
	v_fmac_f64_e32 v[64:65], v[168:169], v[4:5]
	v_fma_f64 v[76:77], v[168:169], v[6:7], -v[0:1]
	v_mul_f64 v[78:79], v[190:191], v[14:15]
	v_mul_f64 v[0:1], v[190:191], v[12:13]
	v_fma_f64 v[4:5], -0.5, v[2:3], v[40:41]
	v_add_f64 v[2:3], v[18:19], -v[56:57]
	s_mov_b32 s3, 0xbfee6f0e
	s_mov_b32 s0, 0x4755a5e
	;; [unrolled: 1-line block ×4, first 2 shown]
	v_fmac_f64_e32 v[78:79], v[188:189], v[12:13]
	v_fma_f64 v[80:81], v[188:189], v[14:15], -v[0:1]
	v_fma_f64 v[8:9], s[2:3], v[2:3], v[4:5]
	v_add_f64 v[6:7], v[72:73], -v[54:55]
	s_mov_b32 s1, 0xbfe2cf23
	v_add_f64 v[12:13], v[16:17], -v[70:71]
	v_add_f64 v[14:15], v[10:11], -v[74:75]
	s_mov_b32 s8, 0x372fe950
	v_fmac_f64_e32 v[4:5], s[10:11], v[2:3]
	s_mov_b32 s13, 0x3fe2cf23
	s_mov_b32 s12, s0
	v_mul_f64 v[0:1], v[182:183], v[58:59]
	v_fmac_f64_e32 v[8:9], s[0:1], v[6:7]
	v_add_f64 v[12:13], v[12:13], v[14:15]
	s_mov_b32 s9, 0x3fd3c6ef
	v_fmac_f64_e32 v[4:5], s[12:13], v[6:7]
	v_fma_f64 v[84:85], v[180:181], v[60:61], -v[0:1]
	s_waitcnt lgkmcnt(0)
	v_mul_f64 v[0:1], v[178:179], v[66:67]
	v_fmac_f64_e32 v[8:9], s[8:9], v[12:13]
	v_fmac_f64_e32 v[4:5], s[8:9], v[12:13]
	v_add_f64 v[12:13], v[16:17], v[10:11]
	v_mul_f64 v[82:83], v[182:183], v[60:61]
	v_fma_f64 v[88:89], v[176:177], v[68:69], -v[0:1]
	v_add_f64 v[0:1], v[40:41], v[16:17]
	v_fmac_f64_e32 v[40:41], -0.5, v[12:13]
	v_fmac_f64_e32 v[82:83], v[180:181], v[58:59]
	v_add_f64 v[0:1], v[0:1], v[70:71]
	v_fma_f64 v[12:13], s[10:11], v[6:7], v[40:41]
	v_add_f64 v[14:15], v[70:71], -v[16:17]
	v_add_f64 v[58:59], v[74:75], -v[10:11]
	v_fmac_f64_e32 v[40:41], s[2:3], v[6:7]
	v_add_f64 v[6:7], v[72:73], v[54:55]
	v_add_f64 v[0:1], v[0:1], v[74:75]
	v_fmac_f64_e32 v[12:13], s[0:1], v[2:3]
	v_add_f64 v[14:15], v[14:15], v[58:59]
	v_fmac_f64_e32 v[40:41], s[12:13], v[2:3]
	v_fma_f64 v[6:7], -0.5, v[6:7], v[42:43]
	v_add_f64 v[16:17], v[16:17], -v[10:11]
	v_add_f64 v[0:1], v[0:1], v[10:11]
	v_fmac_f64_e32 v[12:13], s[8:9], v[14:15]
	v_fmac_f64_e32 v[40:41], s[8:9], v[14:15]
	v_fma_f64 v[10:11], s[10:11], v[16:17], v[6:7]
	v_add_f64 v[58:59], v[70:71], -v[74:75]
	v_add_f64 v[14:15], v[18:19], -v[72:73]
	;; [unrolled: 1-line block ×3, first 2 shown]
	v_fmac_f64_e32 v[6:7], s[2:3], v[16:17]
	v_fmac_f64_e32 v[10:11], s[12:13], v[58:59]
	v_add_f64 v[14:15], v[14:15], v[60:61]
	v_fmac_f64_e32 v[6:7], s[0:1], v[58:59]
	v_fmac_f64_e32 v[10:11], s[8:9], v[14:15]
	;; [unrolled: 1-line block ×3, first 2 shown]
	v_add_f64 v[14:15], v[18:19], v[56:57]
	v_add_f64 v[2:3], v[42:43], v[18:19]
	v_fmac_f64_e32 v[42:43], -0.5, v[14:15]
	v_fma_f64 v[14:15], s[2:3], v[58:59], v[42:43]
	v_fmac_f64_e32 v[42:43], s[10:11], v[58:59]
	v_fmac_f64_e32 v[14:15], s[12:13], v[16:17]
	;; [unrolled: 1-line block ×3, first 2 shown]
	v_add_f64 v[16:17], v[44:45], v[64:65]
	v_mul_f64 v[86:87], v[178:179], v[68:69]
	v_add_f64 v[2:3], v[2:3], v[72:73]
	v_add_f64 v[16:17], v[16:17], v[78:79]
	v_fmac_f64_e32 v[86:87], v[176:177], v[66:67]
	v_add_f64 v[2:3], v[2:3], v[54:55]
	v_add_f64 v[18:19], v[72:73], -v[18:19]
	v_add_f64 v[54:55], v[54:55], -v[56:57]
	v_add_f64 v[16:17], v[16:17], v[82:83]
	v_add_f64 v[18:19], v[18:19], v[54:55]
	;; [unrolled: 1-line block ×4, first 2 shown]
	v_fma_f64 v[58:59], -0.5, v[16:17], v[44:45]
	v_add_f64 v[16:17], v[76:77], -v[88:89]
	v_add_f64 v[2:3], v[2:3], v[56:57]
	v_fmac_f64_e32 v[14:15], s[8:9], v[18:19]
	v_fmac_f64_e32 v[42:43], s[8:9], v[18:19]
	v_fma_f64 v[62:63], s[2:3], v[16:17], v[58:59]
	v_add_f64 v[18:19], v[80:81], -v[84:85]
	v_add_f64 v[56:57], v[64:65], -v[78:79]
	;; [unrolled: 1-line block ×3, first 2 shown]
	v_fmac_f64_e32 v[58:59], s[10:11], v[16:17]
	v_fmac_f64_e32 v[62:63], s[0:1], v[18:19]
	v_add_f64 v[56:57], v[56:57], v[60:61]
	v_fmac_f64_e32 v[58:59], s[12:13], v[18:19]
	v_fmac_f64_e32 v[62:63], s[8:9], v[56:57]
	;; [unrolled: 1-line block ×3, first 2 shown]
	v_add_f64 v[56:57], v[64:65], v[86:87]
	v_fmac_f64_e32 v[44:45], -0.5, v[56:57]
	v_fma_f64 v[66:67], s[10:11], v[18:19], v[44:45]
	v_fmac_f64_e32 v[44:45], s[2:3], v[18:19]
	v_fmac_f64_e32 v[66:67], s[0:1], v[16:17]
	;; [unrolled: 1-line block ×3, first 2 shown]
	v_add_f64 v[16:17], v[46:47], v[76:77]
	v_add_f64 v[56:57], v[78:79], -v[64:65]
	v_add_f64 v[60:61], v[82:83], -v[86:87]
	v_add_f64 v[16:17], v[16:17], v[80:81]
	v_add_f64 v[56:57], v[56:57], v[60:61]
	;; [unrolled: 1-line block ×3, first 2 shown]
	v_fmac_f64_e32 v[66:67], s[8:9], v[56:57]
	v_fmac_f64_e32 v[44:45], s[8:9], v[56:57]
	v_add_f64 v[56:57], v[16:17], v[88:89]
	v_add_f64 v[16:17], v[80:81], v[84:85]
	v_fma_f64 v[60:61], -0.5, v[16:17], v[46:47]
	v_add_f64 v[16:17], v[64:65], -v[86:87]
	v_fma_f64 v[64:65], s[10:11], v[16:17], v[60:61]
	v_add_f64 v[18:19], v[78:79], -v[82:83]
	v_add_f64 v[68:69], v[76:77], -v[80:81]
	;; [unrolled: 1-line block ×3, first 2 shown]
	v_fmac_f64_e32 v[60:61], s[2:3], v[16:17]
	v_fmac_f64_e32 v[64:65], s[12:13], v[18:19]
	v_add_f64 v[68:69], v[68:69], v[70:71]
	v_fmac_f64_e32 v[60:61], s[0:1], v[18:19]
	v_fmac_f64_e32 v[64:65], s[8:9], v[68:69]
	;; [unrolled: 1-line block ×3, first 2 shown]
	v_add_f64 v[68:69], v[76:77], v[88:89]
	v_fmac_f64_e32 v[46:47], -0.5, v[68:69]
	v_fma_f64 v[68:69], s[2:3], v[18:19], v[46:47]
	v_add_f64 v[70:71], v[80:81], -v[76:77]
	v_add_f64 v[72:73], v[84:85], -v[88:89]
	v_fmac_f64_e32 v[46:47], s[10:11], v[18:19]
	v_fmac_f64_e32 v[68:69], s[12:13], v[16:17]
	v_add_f64 v[70:71], v[70:71], v[72:73]
	v_fmac_f64_e32 v[46:47], s[0:1], v[16:17]
	v_fmac_f64_e32 v[68:69], s[8:9], v[70:71]
	;; [unrolled: 1-line block ×3, first 2 shown]
	ds_write_b128 v220, v[0:3]
	ds_write_b128 v220, v[8:11] offset:5600
	ds_write_b128 v220, v[12:15] offset:11200
	;; [unrolled: 1-line block ×9, first 2 shown]
	s_waitcnt lgkmcnt(0)
	s_barrier
	ds_read_b128 v[0:3], v220
	v_mov_b32_e32 v52, v51
	v_mad_u64_u32 v[4:5], s[0:1], s7, v224, v[52:53]
	v_mov_b32_e32 v51, v4
	ds_read_b128 v[4:7], v220 offset:2800
	s_waitcnt lgkmcnt(1)
	v_mul_f64 v[8:9], v[38:39], v[2:3]
	v_fmac_f64_e32 v[8:9], v[36:37], v[0:1]
	s_mov_b32 s0, 0x835d548e
	v_mul_f64 v[0:1], v[38:39], v[0:1]
	s_mov_b32 s1, 0x3f42b97d
	v_fma_f64 v[0:1], v[36:37], v[2:3], -v[0:1]
	v_mad_u64_u32 v[12:13], s[2:3], s4, v222, 0
	v_mul_f64 v[10:11], v[0:1], s[0:1]
	v_mov_b32_e32 v0, v13
	v_mad_u64_u32 v[0:1], s[2:3], s5, v222, v[0:1]
	v_mov_b32_e32 v13, v0
	ds_read_b128 v[0:3], v220 offset:14000
	v_lshl_add_u64 v[14:15], v[50:51], 4, v[48:49]
	v_accvgpr_read_b32 v39, a11
	v_mul_f64 v[8:9], v[8:9], s[0:1]
	v_lshl_add_u64 v[16:17], v[12:13], 4, v[14:15]
	v_accvgpr_read_b32 v38, a10
	global_store_dwordx4 v[16:17], v[8:11], off
	ds_read_b128 v[8:11], v220 offset:11200
	v_accvgpr_read_b32 v37, a9
	v_accvgpr_read_b32 v36, a8
	s_waitcnt lgkmcnt(1)
	v_mul_f64 v[12:13], v[38:39], v[2:3]
	v_fmac_f64_e32 v[12:13], v[36:37], v[0:1]
	v_mul_f64 v[0:1], v[38:39], v[0:1]
	v_mov_b32_e32 v40, 0x36b0
	v_fma_f64 v[0:1], v[36:37], v[2:3], -v[0:1]
	v_mad_u64_u32 v[16:17], s[2:3], s4, v40, v[16:17]
	s_mul_i32 s6, s5, 0x36b0
	v_mul_f64 v[12:13], v[12:13], s[0:1]
	v_mul_f64 v[14:15], v[0:1], s[0:1]
	v_add_u32_e32 v17, s6, v17
	global_store_dwordx4 v[16:17], v[12:15], off
	v_mov_b32_e32 v41, 0xffffd440
	v_mad_u64_u32 v[16:17], s[2:3], s4, v41, v[16:17]
	v_accvgpr_read_b32 v15, a3
	v_accvgpr_read_b32 v14, a2
	;; [unrolled: 1-line block ×4, first 2 shown]
	v_mul_f64 v[0:1], v[14:15], v[6:7]
	v_mul_f64 v[2:3], v[14:15], v[4:5]
	v_fmac_f64_e32 v[0:1], v[12:13], v[4:5]
	v_fma_f64 v[2:3], v[12:13], v[6:7], -v[2:3]
	ds_read_b128 v[4:7], v220 offset:16800
	s_mul_i32 s2, s5, 0xffffd440
	s_sub_i32 s5, s2, s4
	v_accvgpr_read_b32 v39, a7
	v_mul_f64 v[0:1], v[0:1], s[0:1]
	v_mul_f64 v[2:3], v[2:3], s[0:1]
	v_add_u32_e32 v17, s5, v17
	v_accvgpr_read_b32 v38, a6
	global_store_dwordx4 v[16:17], v[0:3], off
	ds_read_b128 v[0:3], v220 offset:19600
	v_accvgpr_read_b32 v37, a5
	v_accvgpr_read_b32 v36, a4
	s_waitcnt lgkmcnt(1)
	v_mul_f64 v[12:13], v[38:39], v[6:7]
	v_fmac_f64_e32 v[12:13], v[36:37], v[4:5]
	v_mul_f64 v[4:5], v[38:39], v[4:5]
	v_fma_f64 v[4:5], v[36:37], v[6:7], -v[4:5]
	v_mul_f64 v[14:15], v[4:5], s[0:1]
	ds_read_b128 v[4:7], v220 offset:5600
	v_mad_u64_u32 v[16:17], s[2:3], s4, v40, v[16:17]
	v_accvgpr_read_b32 v45, a19
	v_mul_f64 v[12:13], v[12:13], s[0:1]
	v_add_u32_e32 v17, s6, v17
	v_accvgpr_read_b32 v44, a18
	global_store_dwordx4 v[16:17], v[12:15], off
	ds_read_b128 v[12:15], v220 offset:8400
	v_accvgpr_read_b32 v43, a17
	v_accvgpr_read_b32 v42, a16
	s_waitcnt lgkmcnt(1)
	v_mul_f64 v[18:19], v[44:45], v[6:7]
	v_fmac_f64_e32 v[18:19], v[42:43], v[4:5]
	v_mul_f64 v[4:5], v[44:45], v[4:5]
	v_fma_f64 v[4:5], v[42:43], v[6:7], -v[4:5]
	v_mad_u64_u32 v[16:17], s[2:3], s4, v41, v[16:17]
	v_mul_f64 v[36:37], v[18:19], s[0:1]
	v_mul_f64 v[38:39], v[4:5], s[0:1]
	v_add_u32_e32 v17, s5, v17
	global_store_dwordx4 v[16:17], v[36:39], off
	v_mad_u64_u32 v[16:17], s[2:3], s4, v40, v[16:17]
	s_nop 0
	v_accvgpr_read_b32 v39, a15
	v_accvgpr_read_b32 v38, a14
	;; [unrolled: 1-line block ×4, first 2 shown]
	v_mul_f64 v[4:5], v[38:39], v[2:3]
	v_fmac_f64_e32 v[4:5], v[36:37], v[0:1]
	v_mul_f64 v[0:1], v[38:39], v[0:1]
	v_fma_f64 v[0:1], v[36:37], v[2:3], -v[0:1]
	v_mul_f64 v[4:5], v[4:5], s[0:1]
	v_mul_f64 v[6:7], v[0:1], s[0:1]
	v_add_u32_e32 v17, s6, v17
	global_store_dwordx4 v[16:17], v[4:7], off
	ds_read_b128 v[4:7], v220 offset:22400
	s_waitcnt lgkmcnt(1)
	v_mul_f64 v[0:1], v[30:31], v[14:15]
	v_mul_f64 v[2:3], v[30:31], v[12:13]
	v_fmac_f64_e32 v[0:1], v[28:29], v[12:13]
	v_fma_f64 v[2:3], v[28:29], v[14:15], -v[2:3]
	v_mad_u64_u32 v[16:17], s[2:3], s4, v41, v[16:17]
	v_mul_f64 v[0:1], v[0:1], s[0:1]
	v_mul_f64 v[2:3], v[2:3], s[0:1]
	v_add_u32_e32 v17, s5, v17
	global_store_dwordx4 v[16:17], v[0:3], off
	ds_read_b128 v[0:3], v220 offset:25200
	s_waitcnt lgkmcnt(1)
	v_mul_f64 v[12:13], v[22:23], v[6:7]
	v_fmac_f64_e32 v[12:13], v[20:21], v[4:5]
	v_mul_f64 v[4:5], v[22:23], v[4:5]
	v_fma_f64 v[4:5], v[20:21], v[6:7], -v[4:5]
	v_mad_u64_u32 v[16:17], s[2:3], s4, v40, v[16:17]
	v_mul_f64 v[14:15], v[4:5], s[0:1]
	v_add_u32_e32 v17, s6, v17
	v_mul_f64 v[4:5], v[26:27], v[10:11]
	v_mul_f64 v[6:7], v[26:27], v[8:9]
	v_fmac_f64_e32 v[4:5], v[24:25], v[8:9]
	v_fma_f64 v[6:7], v[24:25], v[10:11], -v[6:7]
	v_mad_u64_u32 v[8:9], s[2:3], s4, v41, v[16:17]
	v_mul_f64 v[12:13], v[12:13], s[0:1]
	v_mul_f64 v[4:5], v[4:5], s[0:1]
	;; [unrolled: 1-line block ×3, first 2 shown]
	v_add_u32_e32 v9, s5, v9
	global_store_dwordx4 v[16:17], v[12:15], off
	global_store_dwordx4 v[8:9], v[4:7], off
	s_waitcnt lgkmcnt(0)
	s_nop 0
	v_mul_f64 v[4:5], v[34:35], v[2:3]
	v_fmac_f64_e32 v[4:5], v[32:33], v[0:1]
	v_mul_f64 v[0:1], v[34:35], v[0:1]
	v_fma_f64 v[0:1], v[32:33], v[2:3], -v[0:1]
	v_mul_f64 v[4:5], v[4:5], s[0:1]
	v_mul_f64 v[6:7], v[0:1], s[0:1]
	v_mad_u64_u32 v[0:1], s[0:1], s4, v40, v[8:9]
	v_add_u32_e32 v1, s6, v1
	global_store_dwordx4 v[0:1], v[4:7], off
.LBB0_10:
	s_endpgm
	.section	.rodata,"a",@progbits
	.p2align	6, 0x0
	.amdhsa_kernel bluestein_single_fwd_len1750_dim1_dp_op_CI_CI
		.amdhsa_group_segment_fixed_size 28000
		.amdhsa_private_segment_fixed_size 0
		.amdhsa_kernarg_size 104
		.amdhsa_user_sgpr_count 2
		.amdhsa_user_sgpr_dispatch_ptr 0
		.amdhsa_user_sgpr_queue_ptr 0
		.amdhsa_user_sgpr_kernarg_segment_ptr 1
		.amdhsa_user_sgpr_dispatch_id 0
		.amdhsa_user_sgpr_kernarg_preload_length 0
		.amdhsa_user_sgpr_kernarg_preload_offset 0
		.amdhsa_user_sgpr_private_segment_size 0
		.amdhsa_uses_dynamic_stack 0
		.amdhsa_enable_private_segment 0
		.amdhsa_system_sgpr_workgroup_id_x 1
		.amdhsa_system_sgpr_workgroup_id_y 0
		.amdhsa_system_sgpr_workgroup_id_z 0
		.amdhsa_system_sgpr_workgroup_info 0
		.amdhsa_system_vgpr_workitem_id 0
		.amdhsa_next_free_vgpr 279
		.amdhsa_next_free_sgpr 30
		.amdhsa_accum_offset 256
		.amdhsa_reserve_vcc 1
		.amdhsa_float_round_mode_32 0
		.amdhsa_float_round_mode_16_64 0
		.amdhsa_float_denorm_mode_32 3
		.amdhsa_float_denorm_mode_16_64 3
		.amdhsa_dx10_clamp 1
		.amdhsa_ieee_mode 1
		.amdhsa_fp16_overflow 0
		.amdhsa_tg_split 0
		.amdhsa_exception_fp_ieee_invalid_op 0
		.amdhsa_exception_fp_denorm_src 0
		.amdhsa_exception_fp_ieee_div_zero 0
		.amdhsa_exception_fp_ieee_overflow 0
		.amdhsa_exception_fp_ieee_underflow 0
		.amdhsa_exception_fp_ieee_inexact 0
		.amdhsa_exception_int_div_zero 0
	.end_amdhsa_kernel
	.text
.Lfunc_end0:
	.size	bluestein_single_fwd_len1750_dim1_dp_op_CI_CI, .Lfunc_end0-bluestein_single_fwd_len1750_dim1_dp_op_CI_CI
                                        ; -- End function
	.section	.AMDGPU.csdata,"",@progbits
; Kernel info:
; codeLenInByte = 15496
; NumSgprs: 36
; NumVgprs: 256
; NumAgprs: 23
; TotalNumVgprs: 279
; ScratchSize: 0
; MemoryBound: 0
; FloatMode: 240
; IeeeMode: 1
; LDSByteSize: 28000 bytes/workgroup (compile time only)
; SGPRBlocks: 4
; VGPRBlocks: 34
; NumSGPRsForWavesPerEU: 36
; NumVGPRsForWavesPerEU: 279
; AccumOffset: 256
; Occupancy: 1
; WaveLimiterHint : 1
; COMPUTE_PGM_RSRC2:SCRATCH_EN: 0
; COMPUTE_PGM_RSRC2:USER_SGPR: 2
; COMPUTE_PGM_RSRC2:TRAP_HANDLER: 0
; COMPUTE_PGM_RSRC2:TGID_X_EN: 1
; COMPUTE_PGM_RSRC2:TGID_Y_EN: 0
; COMPUTE_PGM_RSRC2:TGID_Z_EN: 0
; COMPUTE_PGM_RSRC2:TIDIG_COMP_CNT: 0
; COMPUTE_PGM_RSRC3_GFX90A:ACCUM_OFFSET: 63
; COMPUTE_PGM_RSRC3_GFX90A:TG_SPLIT: 0
	.text
	.p2alignl 6, 3212836864
	.fill 256, 4, 3212836864
	.type	__hip_cuid_460176aeae31005b,@object ; @__hip_cuid_460176aeae31005b
	.section	.bss,"aw",@nobits
	.globl	__hip_cuid_460176aeae31005b
__hip_cuid_460176aeae31005b:
	.byte	0                               ; 0x0
	.size	__hip_cuid_460176aeae31005b, 1

	.ident	"AMD clang version 19.0.0git (https://github.com/RadeonOpenCompute/llvm-project roc-6.4.0 25133 c7fe45cf4b819c5991fe208aaa96edf142730f1d)"
	.section	".note.GNU-stack","",@progbits
	.addrsig
	.addrsig_sym __hip_cuid_460176aeae31005b
	.amdgpu_metadata
---
amdhsa.kernels:
  - .agpr_count:     23
    .args:
      - .actual_access:  read_only
        .address_space:  global
        .offset:         0
        .size:           8
        .value_kind:     global_buffer
      - .actual_access:  read_only
        .address_space:  global
        .offset:         8
        .size:           8
        .value_kind:     global_buffer
      - .actual_access:  read_only
        .address_space:  global
        .offset:         16
        .size:           8
        .value_kind:     global_buffer
      - .actual_access:  read_only
        .address_space:  global
        .offset:         24
        .size:           8
        .value_kind:     global_buffer
      - .actual_access:  read_only
        .address_space:  global
        .offset:         32
        .size:           8
        .value_kind:     global_buffer
      - .offset:         40
        .size:           8
        .value_kind:     by_value
      - .address_space:  global
        .offset:         48
        .size:           8
        .value_kind:     global_buffer
      - .address_space:  global
        .offset:         56
        .size:           8
        .value_kind:     global_buffer
      - .address_space:  global
        .offset:         64
        .size:           8
        .value_kind:     global_buffer
      - .address_space:  global
        .offset:         72
        .size:           8
        .value_kind:     global_buffer
      - .offset:         80
        .size:           4
        .value_kind:     by_value
      - .address_space:  global
        .offset:         88
        .size:           8
        .value_kind:     global_buffer
      - .address_space:  global
        .offset:         96
        .size:           8
        .value_kind:     global_buffer
    .group_segment_fixed_size: 28000
    .kernarg_segment_align: 8
    .kernarg_segment_size: 104
    .language:       OpenCL C
    .language_version:
      - 2
      - 0
    .max_flat_workgroup_size: 175
    .name:           bluestein_single_fwd_len1750_dim1_dp_op_CI_CI
    .private_segment_fixed_size: 0
    .sgpr_count:     36
    .sgpr_spill_count: 0
    .symbol:         bluestein_single_fwd_len1750_dim1_dp_op_CI_CI.kd
    .uniform_work_group_size: 1
    .uses_dynamic_stack: false
    .vgpr_count:     279
    .vgpr_spill_count: 0
    .wavefront_size: 64
amdhsa.target:   amdgcn-amd-amdhsa--gfx950
amdhsa.version:
  - 1
  - 2
...

	.end_amdgpu_metadata
